;; amdgpu-corpus repo=ROCm/rccl kind=compiled arch=gfx90a opt=O3
	.text
	.amdgcn_target "amdgcn-amd-amdhsa--gfx90a"
	.amdhsa_code_object_version 6
	.p2align	2                               ; -- Begin function _ZN12_GLOBAL__N_17runRingI14__hip_fp8_e4m313FuncPreMulSumIS1_E7ProtoLLLi0ELi1ELi0EEEviiP15ncclDevWorkColl
	.type	_ZN12_GLOBAL__N_17runRingI14__hip_fp8_e4m313FuncPreMulSumIS1_E7ProtoLLLi0ELi1ELi0EEEviiP15ncclDevWorkColl,@function
_ZN12_GLOBAL__N_17runRingI14__hip_fp8_e4m313FuncPreMulSumIS1_E7ProtoLLLi0ELi1ELi0EEEviiP15ncclDevWorkColl: ; @_ZN12_GLOBAL__N_17runRingI14__hip_fp8_e4m313FuncPreMulSumIS1_E7ProtoLLLi0ELi1ELi0EEEviiP15ncclDevWorkColl
; %bb.0:
	s_waitcnt vmcnt(0) expcnt(0) lgkmcnt(0)
	s_or_saveexec_b64 s[4:5], -1
	buffer_store_dword v63, off, s[0:3], s32 offset:136 ; 4-byte Folded Spill
	s_mov_b64 exec, s[4:5]
	buffer_store_dword v40, off, s[0:3], s32 offset:132 ; 4-byte Folded Spill
	buffer_store_dword v41, off, s[0:3], s32 offset:128 ; 4-byte Folded Spill
	;; [unrolled: 1-line block ×33, first 2 shown]
	buffer_store_dword a51, off, s[0:3], s32 ; 4-byte Folded Spill
	v_writelane_b32 v63, s34, 0
	v_writelane_b32 v63, s35, 1
	v_writelane_b32 v63, s36, 2
	v_writelane_b32 v63, s37, 3
	v_writelane_b32 v63, s38, 4
	v_writelane_b32 v63, s39, 5
	v_writelane_b32 v63, s40, 6
	v_writelane_b32 v63, s41, 7
	v_writelane_b32 v63, s42, 8
	v_writelane_b32 v63, s43, 9
	v_writelane_b32 v63, s44, 10
	v_writelane_b32 v63, s45, 11
	v_writelane_b32 v63, s46, 12
	v_writelane_b32 v63, s47, 13
	v_writelane_b32 v63, s48, 14
	v_writelane_b32 v63, s49, 15
	v_writelane_b32 v63, s50, 16
	v_writelane_b32 v63, s51, 17
	v_writelane_b32 v63, s52, 18
	v_writelane_b32 v63, s53, 19
	v_writelane_b32 v63, s54, 20
	v_writelane_b32 v63, s55, 21
	v_writelane_b32 v63, s56, 22
	v_writelane_b32 v63, s57, 23
	v_writelane_b32 v63, s58, 24
	v_writelane_b32 v63, s59, 25
	v_writelane_b32 v63, s60, 26
	v_writelane_b32 v63, s61, 27
	v_writelane_b32 v63, s62, 28
	v_writelane_b32 v63, s63, 29
	v_writelane_b32 v63, s64, 30
	v_writelane_b32 v63, s65, 31
	v_writelane_b32 v63, s66, 32
	v_writelane_b32 v63, s67, 33
	v_writelane_b32 v63, s68, 34
	v_writelane_b32 v63, s69, 35
	v_writelane_b32 v63, s70, 36
	v_writelane_b32 v63, s71, 37
	v_writelane_b32 v63, s30, 38
	v_writelane_b32 v63, s31, 39
	s_trap 2
	flat_load_dword v7, v[2:3]
	flat_load_dwordx4 v[22:25], v[2:3] offset:72
	flat_load_dwordx2 v[18:19], v[2:3] offset:88
	ds_read_b32 v5, v0
	ds_read_b64 a[6:7], v0
	v_mov_b32_e32 v20, v1
                                        ; implicit-def: $agpr8_agpr9
	s_waitcnt lgkmcnt(0)
	v_readfirstlane_b32 s20, v5
	s_waitcnt vmcnt(0)
	v_not_b32_sdwa v6, v7 dst_sel:DWORD dst_unused:UNUSED_PAD src0_sel:BYTE_0
	v_add_u32_sdwa v4, v7, v6 dst_sel:DWORD dst_unused:UNUSED_PAD src0_sel:BYTE_1 src1_sel:DWORD
	v_ashrrev_i32_e32 v10, 31, v4
	v_mul_lo_u32 v11, v25, v4
	v_mad_u64_u32 v[8:9], s[4:5], v24, v4, 0
	v_mul_lo_u32 v4, v24, v10
	v_add3_u32 v4, v9, v4, v11
	v_cmp_ne_u32_sdwa s[4:5], v7, v5 src0_sel:BYTE_0 src1_sel:DWORD
                                        ; implicit-def: $vgpr10_vgpr11
	s_and_saveexec_b64 s[6:7], s[4:5]
	s_xor_b64 s[4:5], exec, s[6:7]
	s_cbranch_execz .LBB0_6
; %bb.1:
	v_cmp_ne_u32_sdwa s[6:7], v7, v5 src0_sel:BYTE_1 src1_sel:DWORD
                                        ; implicit-def: $vgpr10_vgpr11
                                        ; implicit-def: $agpr8_agpr9
	s_and_saveexec_b64 s[10:11], s[6:7]
	s_xor_b64 s[6:7], exec, s[10:11]
	s_cbranch_execz .LBB0_3
; %bb.2:
	flat_load_dwordx2 v[10:11], v[2:3] offset:96
	v_add_u32_e32 v5, v5, v6
	v_ashrrev_i32_e32 v6, 31, v5
	v_mul_lo_u32 v6, v24, v6
	v_mul_lo_u32 v7, v25, v5
	v_mad_u64_u32 v[12:13], s[10:11], v24, v5, v[22:23]
	v_add3_u32 v13, v7, v13, v6
	v_accvgpr_write_b32 a8, v12
	v_accvgpr_write_b32 a9, v13
	s_waitcnt vmcnt(0) lgkmcnt(0)
	v_lshrrev_b64 v[10:11], 17, v[10:11]
.LBB0_3:
	s_andn2_saveexec_b64 s[6:7], s[6:7]
	s_cbranch_execz .LBB0_5
; %bb.4:
	flat_load_dword v5, v[2:3] offset:100
	v_add_co_u32_e32 v6, vcc, v8, v22
	v_addc_co_u32_e32 v7, vcc, v4, v23, vcc
	v_accvgpr_write_b32 a9, v7
	v_accvgpr_write_b32 a8, v6
	v_pk_mov_b32 v[24:25], v[18:19], v[18:19] op_sel:[0,1]
	s_waitcnt vmcnt(0) lgkmcnt(0)
	v_lshrrev_b32_e32 v10, 6, v5
.LBB0_5:
	s_or_b64 exec, exec, s[6:7]
.LBB0_6:
	s_andn2_saveexec_b64 s[4:5], s[4:5]
	s_cbranch_execz .LBB0_8
; %bb.7:
	flat_load_dwordx2 v[6:7], v[2:3] offset:96
	v_pk_mov_b32 v[10:11], 0, 0
	v_accvgpr_write_b32 a8, v10
	v_accvgpr_write_b32 a9, v11
	v_pk_mov_b32 v[24:25], v[22:23], v[22:23] op_sel:[0,1]
	s_waitcnt vmcnt(0) lgkmcnt(0)
	v_lshlrev_b64 v[10:11], 4, v[6:7]
.LBB0_8:
	s_or_b64 exec, exec, s[4:5]
	flat_load_dwordx2 v[14:15], v[2:3] offset:104
	flat_load_dwordx4 a[10:13], v[2:3] offset:16
	flat_load_ushort v13, v[2:3] offset:8
	flat_load_dword v12, v[2:3] offset:4
	v_mov_b32_e32 v2, 0
	s_mov_b32 s13, 0
	v_mov_b32_e32 v62, 0
	s_waitcnt vmcnt(0) lgkmcnt(0)
	v_cmp_ne_u16_sdwa s[6:7], v14, v2 src0_sel:BYTE_0 src1_sel:DWORD
	s_and_saveexec_b64 s[4:5], s[6:7]
	s_cbranch_execz .LBB0_14
; %bb.9:
	s_movk_i32 s6, 0x80
	v_cmp_ne_u16_sdwa s[10:11], v14, s6 src0_sel:BYTE_0 src1_sel:DWORD
	v_bfrev_b32_e32 v62, 1
	s_and_saveexec_b64 s[6:7], s[10:11]
	s_cbranch_execz .LBB0_13
; %bb.10:
	s_movk_i32 s10, 0x7f
	v_and_b32_e32 v3, 0x7f, v14
	v_cmp_ne_u32_e32 vcc, s10, v3
	v_mov_b32_e32 v62, 0x7f800001
	s_and_saveexec_b64 s[10:11], vcc
	s_cbranch_execz .LBB0_12
; %bb.11:
	v_and_b32_e32 v5, 7, v14
	v_ffbh_u32_e32 v5, v5
	v_min_u32_e32 v5, 32, v5
	v_lshrrev_b32_e32 v6, 3, v3
	v_subrev_u32_e32 v7, 28, v5
	v_sub_u32_e32 v5, 29, v5
	v_cmp_gt_u32_e32 vcc, 8, v3
	v_cndmask_b32_e32 v3, v6, v5, vcc
	v_cndmask_b32_e32 v5, 0, v7, vcc
	v_lshlrev_b64 v[6:7], v5, v[14:15]
	v_lshlrev_b32_e32 v5, 20, v6
	v_lshlrev_b32_e32 v6, 24, v14
	v_bfrev_b32_e32 v7, 60
	v_and_b32_e32 v5, 0x700000, v5
	v_and_b32_e32 v6, 0x80000000, v6
	v_lshl_add_u32 v3, v3, 23, v7
	v_or3_b32 v62, v6, v3, v5
.LBB0_12:
	s_or_b64 exec, exec, s[10:11]
.LBB0_13:
	s_or_b64 exec, exec, s[6:7]
.LBB0_14:
	s_or_b64 exec, exec, s[4:5]
	s_load_dword s4, s[8:9], 0x0
	v_lshrrev_b64 v[6:7], 31, v[12:13]
	v_mov_b32_e32 v12, v0
	v_and_b32_e32 v5, 63, v12
	v_and_b32_e32 v6, 3, v6
	s_waitcnt lgkmcnt(0)
	s_cmp_lt_u32 s12, s4
	s_cselect_b32 s4, 12, 18
	s_add_u32 s4, s8, s4
	s_addc_u32 s5, s9, 0
	global_load_ushort v9, v2, s[4:5]
	s_trap 2
	ds_read_b32 v2, v0
	v_pk_mov_b32 v[26:27], 0, 0
	v_cmp_eq_u32_e64 s[4:5], 0, v5
	s_waitcnt lgkmcnt(0)
	v_cmp_gt_i32_e32 vcc, 0, v2
	v_readfirstlane_b32 s8, v2
	s_cbranch_vccnz .LBB0_16
; %bb.15:
	s_trap 2
	ds_read_b64 v[12:13], v0
	v_mov_b32_e32 v3, 0
	v_lshlrev_b64 v[2:3], 3, v[2:3]
	v_and_b32_e32 v7, 0xffff, v6
	s_movk_i32 s6, 0xa8
	s_waitcnt lgkmcnt(0)
	v_add_co_u32_e32 v2, vcc, v12, v2
	v_addc_co_u32_e32 v3, vcc, v13, v3, vcc
	flat_load_dwordx2 v[2:3], v[2:3]
	s_mov_b32 s13, 1
	s_waitcnt vmcnt(0) lgkmcnt(0)
	v_mad_u64_u32 v[2:3], s[6:7], v7, s6, v[2:3]
	flat_load_dwordx2 a[18:19], v[2:3] offset:504
	flat_load_dwordx2 v[34:35], v[2:3] offset:608
	v_add_co_u32_e32 v2, vcc, 0x1f8, v2
	v_addc_co_u32_e32 v3, vcc, 0, v3, vcc
	v_cndmask_b32_e64 v29, 0, v3, s[4:5]
	v_cndmask_b32_e64 v28, 0, v2, s[4:5]
	s_branch .LBB0_17
.LBB0_16:
	v_pk_mov_b32 v[28:29], v[26:27], v[26:27] op_sel:[0,1]
                                        ; implicit-def: $vgpr34_vgpr35
                                        ; implicit-def: $agpr18_agpr19
.LBB0_17:
	s_trap 2
	ds_read_b32 v2, v0
	s_waitcnt lgkmcnt(0)
	v_cmp_gt_i32_e32 vcc, 0, v2
	s_cbranch_vccnz .LBB0_19
; %bb.18:
	s_trap 2
	ds_read_b64 v[12:13], v0
	v_mov_b32_e32 v3, 0
	v_lshlrev_b64 v[2:3], 3, v[2:3]
	v_and_b32_e32 v6, 0xffff, v6
	s_movk_i32 s4, 0xa8
	s_waitcnt lgkmcnt(0)
	v_add_co_u32_e32 v2, vcc, v12, v2
	v_addc_co_u32_e32 v3, vcc, v13, v3, vcc
	flat_load_dwordx2 v[2:3], v[2:3]
	v_cmp_eq_u32_e32 vcc, 0, v5
	s_waitcnt vmcnt(0) lgkmcnt(0)
	v_mad_u64_u32 v[2:3], s[4:5], v6, s4, v[2:3]
	flat_load_dwordx2 a[20:21], v[2:3]
	flat_load_dwordx2 v[16:17], v[2:3] offset:104
	v_cndmask_b32_e32 v27, 0, v3, vcc
	v_cndmask_b32_e32 v26, 0, v2, vcc
	s_branch .LBB0_20
.LBB0_19:
                                        ; implicit-def: $vgpr16_vgpr17
                                        ; implicit-def: $agpr20_agpr21
.LBB0_20:
	v_subrev_u32_e32 v2, 64, v20
	v_mov_b32_e32 v6, v0
	v_pk_mov_b32 v[12:13], 0, 0
	v_cmp_le_i32_e32 vcc, v2, v6
	v_cmp_gt_u32_e64 s[4:5], s13, v5
	v_accvgpr_write_b32 a25, v13
	s_and_b64 s[22:23], vcc, s[4:5]
	v_accvgpr_write_b32 a24, v12
                                        ; implicit-def: $agpr22_agpr23
	s_and_saveexec_b64 s[4:5], s[22:23]
	s_cbranch_execz .LBB0_22
; %bb.21:
	flat_load_dwordx2 a[24:25], v[28:29] offset:56
	flat_load_dwordx2 a[22:23], v[28:29] offset:104
.LBB0_22:
	s_or_b64 exec, exec, s[4:5]
	v_mov_b32_e32 v2, v0
	v_accvgpr_write_b32 a27, v13
	v_cmp_gt_i32_e64 s[4:5], s13, v2
	v_accvgpr_write_b32 a26, v12
                                        ; implicit-def: $vgpr52_vgpr53
	s_and_saveexec_b64 s[6:7], s[4:5]
	s_cbranch_execz .LBB0_24
; %bb.23:
	flat_load_dwordx2 v[2:3], v[26:27] offset:56
	s_waitcnt vmcnt(0) lgkmcnt(0)
	flat_load_dwordx2 v[52:53], v[2:3] glc
	s_waitcnt vmcnt(0)
	flat_load_dwordx4 v[12:15], v[26:27] offset:96
	v_accvgpr_write_b32 a27, v3
	v_accvgpr_write_b32 a26, v2
.LBB0_24:
	s_or_b64 exec, exec, s[6:7]
	v_cmp_ne_u64_e32 vcc, 0, v[24:25]
	v_pk_mov_b32 v[54:55], 0, 0
	s_and_saveexec_b64 s[24:25], vcc
	s_cbranch_execz .LBB0_1032
; %bb.25:
	v_add_co_u32_e32 v1, vcc, v18, v22
	s_ashr_i32 s6, s8, 31
	v_addc_co_u32_e32 v2, vcc, v19, v23, vcc
	s_lshr_b32 s6, s6, 29
	v_add_co_u32_e32 v1, vcc, v1, v8
	s_ashr_i32 s21, s20, 31
	s_add_i32 s8, s8, s6
	v_accvgpr_write_b32 a3, v1
	v_addc_co_u32_e32 v1, vcc, v2, v4, vcc
	s_lshl_b64 s[6:7], s[20:21], 2
	v_accvgpr_read_b32 v2, a6
	v_accvgpr_write_b32 a28, v1
	v_mov_b32_e32 v1, s7
	v_accvgpr_read_b32 v3, a7
	v_add_co_u32_e32 v2, vcc, s6, v2
	v_addc_co_u32_e32 v1, vcc, v3, v1, vcc
	v_add_co_u32_e32 v2, vcc, -4, v2
	v_addc_co_u32_e32 v3, vcc, -1, v1, vcc
	v_accvgpr_write_b32 a31, v3
	v_and_b32_e32 v1, 63, v31
	v_ashrrev_i32_e32 v21, 31, v20
	v_accvgpr_write_b32 a30, v2
	v_accvgpr_read_b32 v2, a26
	v_cmp_eq_u32_e64 s[12:13], 0, v1
	v_lshrrev_b32_e32 v1, 26, v21
	v_accvgpr_read_b32 v3, a27
	v_add_u32_e32 v1, v20, v1
	v_cmp_ne_u64_e64 s[6:7], 0, v[2:3]
	v_ashrrev_i32_e32 v2, 6, v1
	v_accvgpr_write_b32 a32, v2
	v_ashrrev_i32_e32 v1, 31, v2
	v_accvgpr_read_b32 v2, a10
	v_lshlrev_b32_e32 v6, 3, v0
	v_accvgpr_read_b32 v4, a12
	v_accvgpr_write_b32 a29, v1
	v_ashrrev_i32_e32 v1, 31, v6
	v_accvgpr_read_b32 v5, a13
	v_add_co_u32_e32 v7, vcc, v4, v6
	v_addc_co_u32_e32 v8, vcc, v5, v1, vcc
	v_accvgpr_read_b32 v3, a11
	v_add_co_u32_e32 v2, vcc, v2, v6
	v_accvgpr_write_b32 a37, v2
	v_accvgpr_write_b32 a33, v1
	v_addc_co_u32_e32 v1, vcc, v3, v1, vcc
	v_accvgpr_read_b32 v2, a8
	v_accvgpr_read_b32 v3, a9
	v_add_co_u32_e32 v2, vcc, v7, v2
	v_addc_co_u32_e32 v3, vcc, v8, v3, vcc
	v_accvgpr_write_b32 a38, v1
	v_accvgpr_write_b32 a41, v3
	v_ashrrev_i32_e32 v1, 31, v0
	s_ashr_i32 s10, s8, 3
	v_accvgpr_write_b32 a40, v2
	v_accvgpr_write_b32 a2, v0
	v_lshlrev_b64 v[0:1], 4, v[0:1]
	s_waitcnt vmcnt(0) lgkmcnt(0)
	v_accvgpr_read_b32 v2, a20
	s_ashr_i32 s58, s8, 7
	s_and_b32 s21, s10, -16
	v_accvgpr_read_b32 v4, a24
	v_accvgpr_read_b32 v3, a21
	v_add_co_u32_e32 v0, vcc, v2, v0
	v_accvgpr_write_b32 a16, v28
	v_accvgpr_write_b32 a14, v26
	v_mov_b32_e32 v43, 0
	v_accvgpr_write_b32 a1, v9
	v_cmp_ne_u32_sdwa s[28:29], v9, v20 src0_sel:WORD_0 src1_sel:DWORD
	v_lshlrev_b32_e32 v56, 3, v20
	s_cmp_gt_i32 s20, 2
	v_accvgpr_read_b32 v5, a25
	v_accvgpr_write_b32 a36, v8
	v_lshlrev_b32_e32 v38, 6, v20
	v_accvgpr_write_b32 a42, v0
	v_addc_co_u32_e32 v0, vcc, v3, v1, vcc
	v_pk_mov_b32 v[8:9], 0, 0
	v_accvgpr_write_b32 a17, v29
	v_accvgpr_write_b32 a15, v27
	v_and_b32_e32 v10, 0x1fffff0, v10
	v_mov_b32_e32 v11, v43
	s_mov_b64 s[26:27], 0
	v_cmp_ne_u64_e64 s[8:9], 0, v[12:13]
	v_cmp_ne_u32_e64 s[10:11], 64, v20
	v_accvgpr_write_b32 a0, v31
	s_cselect_b64 s[30:31], -1, 0
	v_cmp_ne_u64_e64 s[14:15], 0, v[4:5]
	v_accvgpr_write_b32 a34, v6
	v_accvgpr_write_b32 a35, v7
	;; [unrolled: 1-line block ×3, first 2 shown]
	s_movk_i32 s59, 0x2710
	s_mov_b64 s[34:35], 0x7ffffff8
	s_movk_i32 s60, 0xff
	s_movk_i32 s61, 0x80
	;; [unrolled: 1-line block ×3, first 2 shown]
	s_mov_b64 s[36:37], 0x7f800000
	s_mov_b64 s[38:39], 0x43e00001
	s_movk_i32 s63, 0x7a
	s_mov_b64 s[40:41], 0xffffff
	s_mov_b32 s64, 0xffffff
	s_mov_b32 s65, 0xc0c0500
	;; [unrolled: 1-line block ×6, first 2 shown]
	v_bfrev_b32_e32 v47, 60
	v_mov_b32_e32 v30, 0xffffff82
	v_mov_b32_e32 v6, 0x78
	;; [unrolled: 1-line block ×4, first 2 shown]
	v_ashrrev_i32_e32 v45, 31, v56
	v_lshlrev_b64 v[58:59], 4, v[20:21]
	v_pk_mov_b32 v[54:55], v[8:9], v[8:9] op_sel:[0,1]
	v_accvgpr_write_b32 a39, v38
	s_branch .LBB0_27
.LBB0_26:                               ;   in Loop: Header=BB0_27 Depth=1
	s_or_b64 exec, exec, s[16:17]
	v_add_co_u32_e32 v34, vcc, 1, v34
	v_addc_co_u32_e32 v35, vcc, 0, v35, vcc
	v_add_co_u32_e32 v8, vcc, v8, v2
	v_accvgpr_read_b32 v25, a5
	v_addc_co_u32_e32 v9, vcc, 0, v9, vcc
	v_accvgpr_read_b32 v24, a4
	v_cmp_ge_u64_e32 vcc, v[8:9], v[24:25]
	v_accvgpr_read_b32 v0, a40
	s_or_b64 s[26:27], vcc, s[26:27]
	v_accvgpr_read_b32 v1, a41
	v_add_co_u32_e32 v0, vcc, v0, v2
	v_addc_co_u32_e32 v1, vcc, 0, v1, vcc
	v_accvgpr_write_b32 a41, v1
	v_accvgpr_write_b32 a40, v0
	v_pk_mov_b32 v[10:11], v[2:3], v[2:3] op_sel:[0,1]
	s_andn2_b64 exec, exec, s[26:27]
	s_cbranch_execz .LBB0_1031
.LBB0_27:                               ; =>This Loop Header: Depth=1
                                        ;     Child Loop BB0_34 Depth 2
                                        ;     Child Loop BB0_51 Depth 2
	;; [unrolled: 1-line block ×5, first 2 shown]
                                        ;       Child Loop BB0_235 Depth 3
                                        ;       Child Loop BB0_251 Depth 3
	;; [unrolled: 1-line block ×3, first 2 shown]
                                        ;         Child Loop BB0_272 Depth 4
                                        ;       Child Loop BB0_624 Depth 3
                                        ;       Child Loop BB0_228 Depth 3
                                        ;     Child Loop BB0_639 Depth 2
                                        ;       Child Loop BB0_647 Depth 3
                                        ;     Child Loop BB0_1019 Depth 2
	v_accvgpr_read_b32 v0, a30
	v_accvgpr_read_b32 v1, a31
	flat_load_dword v2, v[0:1]
	v_sub_co_u32_e32 v0, vcc, v24, v8
	v_subb_co_u32_e32 v1, vcc, v25, v9, vcc
	v_cmp_lt_u64_e32 vcc, v[10:11], v[0:1]
	v_cndmask_b32_e32 v3, v0, v10, vcc
	v_lshl_add_u32 v0, v3, 1, 14
	v_accvgpr_write_b32 a4, v24
	v_accvgpr_write_b32 a10, v10
	v_and_b32_e32 v0, 0x7fffff0, v0
	v_accvgpr_write_b32 a5, v25
	v_accvgpr_write_b32 a11, v11
	;; [unrolled: 1-line block ×3, first 2 shown]
	s_mov_b64 s[16:17], exec
	v_accvgpr_write_b32 a45, v9
	s_and_b64 s[18:19], s[16:17], s[6:7]
	v_accvgpr_write_b32 a44, v8
	s_mov_b64 exec, s[18:19]
	s_cbranch_execz .LBB0_43
; %bb.28:                               ;   in Loop: Header=BB0_27 Depth=1
	v_add_co_u32_e32 v0, vcc, 1, v14
	v_addc_co_u32_e32 v1, vcc, 0, v15, vcc
	v_add_co_u32_e32 v4, vcc, 8, v52
	v_addc_co_u32_e32 v5, vcc, 0, v53, vcc
	v_cmp_lt_u64_e32 vcc, v[4:5], v[0:1]
	s_and_saveexec_b64 s[18:19], vcc
	s_cbranch_execz .LBB0_40
; %bb.29:                               ;   in Loop: Header=BB0_27 Depth=1
	v_accvgpr_read_b32 v4, a26
	v_accvgpr_read_b32 v5, a27
	s_sleep 1
	flat_load_dwordx2 v[52:53], v[4:5] glc
	v_cmp_eq_u32_e32 vcc, 0, v40
	s_and_saveexec_b64 s[42:43], vcc
	s_cbranch_execz .LBB0_39
; %bb.30:                               ;   in Loop: Header=BB0_27 Depth=1
	v_cndmask_b32_e64 v4, 0, 1, vcc
	s_mov_b64 s[44:45], 0
                                        ; implicit-def: $sgpr46_sgpr47
	s_branch .LBB0_34
.LBB0_31:                               ;   in Loop: Header=BB0_34 Depth=2
	s_or_b64 exec, exec, s[54:55]
	s_orn2_b64 s[52:53], s[52:53], exec
.LBB0_32:                               ;   in Loop: Header=BB0_34 Depth=2
	s_or_b64 exec, exec, s[50:51]
	s_xor_b64 vcc, s[52:53], -1
	s_andn2_b64 s[46:47], s[46:47], exec
	s_and_b64 vcc, vcc, exec
	s_or_b64 s[46:47], s[46:47], vcc
.LBB0_33:                               ;   in Loop: Header=BB0_34 Depth=2
	s_or_b64 exec, exec, s[48:49]
	s_and_b64 vcc, exec, s[46:47]
	s_or_b64 s[44:45], vcc, s[44:45]
	s_andn2_b64 exec, exec, s[44:45]
	s_cbranch_execz .LBB0_38
.LBB0_34:                               ;   Parent Loop BB0_27 Depth=1
                                        ; =>  This Inner Loop Header: Depth=2
	s_waitcnt vmcnt(0) lgkmcnt(0)
	v_add_co_u32_e32 v8, vcc, 8, v52
	v_addc_co_u32_e32 v9, vcc, 0, v53, vcc
	v_cmp_lt_u64_e32 vcc, v[8:9], v[0:1]
	v_mov_b32_e32 v40, 0
	s_or_b64 s[46:47], s[46:47], exec
	s_and_saveexec_b64 s[48:49], vcc
	s_cbranch_execz .LBB0_33
; %bb.35:                               ;   in Loop: Header=BB0_34 Depth=2
	v_accvgpr_read_b32 v8, a26
	v_accvgpr_read_b32 v9, a27
	s_sleep 1
	flat_load_dwordx2 v[52:53], v[8:9] glc
	v_add_u32_e32 v4, 1, v4
	v_cmp_eq_u32_e32 vcc, s59, v4
	s_mov_b64 s[52:53], -1
	v_mov_b32_e32 v40, 0
	s_and_saveexec_b64 s[50:51], vcc
	s_cbranch_execz .LBB0_32
; %bb.36:                               ;   in Loop: Header=BB0_34 Depth=2
	s_trap 2
	ds_read_b64 v[4:5], v0
	v_mov_b32_e32 v40, 0
	s_waitcnt vmcnt(0) lgkmcnt(0)
	flat_load_dword v5, v[4:5] glc
	s_waitcnt vmcnt(0) lgkmcnt(0)
	buffer_invl2
	buffer_wbinvl1_vol
	v_mov_b32_e32 v4, 0
	v_cmp_ne_u32_e32 vcc, 0, v5
	s_and_saveexec_b64 s[54:55], vcc
	s_cbranch_execz .LBB0_31
; %bb.37:                               ;   in Loop: Header=BB0_34 Depth=2
	v_mov_b32_e32 v40, 1
	s_xor_b64 s[52:53], exec, -1
	ds_write_b32 v0, v5
	s_trap 2
	s_branch .LBB0_31
.LBB0_38:                               ;   in Loop: Header=BB0_27 Depth=1
	s_or_b64 exec, exec, s[44:45]
	v_accvgpr_read_b32 v8, a44
	v_accvgpr_read_b32 v9, a45
.LBB0_39:                               ;   in Loop: Header=BB0_27 Depth=1
	s_or_b64 exec, exec, s[42:43]
.LBB0_40:                               ;   in Loop: Header=BB0_27 Depth=1
	s_or_b64 exec, exec, s[18:19]
	s_and_saveexec_b64 s[18:19], s[8:9]
	s_cbranch_execz .LBB0_42
; %bb.41:                               ;   in Loop: Header=BB0_27 Depth=1
	v_and_b32_e32 v42, 0x7ffffff8, v14
	v_mov_b32_e32 v4, s21
	v_cmp_eq_u64_e32 vcc, s[34:35], v[42:43]
	v_accvgpr_read_b32 v5, a46
	v_cndmask_b32_e32 v4, v5, v4, vcc
	v_and_b32_e32 v8, 7, v14
	v_ashrrev_i32_e32 v5, 31, v4
	v_mad_u64_u32 v[8:9], vcc, v8, 24, v[12:13]
	flat_store_dwordx2 v[8:9], v[4:5] offset:8
	s_waitcnt vmcnt(0)
	v_accvgpr_read_b32 v8, a44
	v_accvgpr_read_b32 v9, a45
.LBB0_42:                               ;   in Loop: Header=BB0_27 Depth=1
	s_or_b64 exec, exec, s[18:19]
	v_pk_mov_b32 v[14:15], v[0:1], v[0:1] op_sel:[0,1]
.LBB0_43:                               ;   in Loop: Header=BB0_27 Depth=1
	s_or_b64 exec, exec, s[16:17]
	s_and_saveexec_b64 s[16:17], s[10:11]
	s_cbranch_execz .LBB0_62
; %bb.44:                               ;   in Loop: Header=BB0_27 Depth=1
	s_and_saveexec_b64 s[18:19], s[28:29]
	s_xor_b64 s[18:19], exec, s[18:19]
	s_cbranch_execz .LBB0_59
; %bb.45:                               ;   in Loop: Header=BB0_27 Depth=1
	s_and_saveexec_b64 s[42:43], s[12:13]
	s_cbranch_execz .LBB0_58
; %bb.46:                               ;   in Loop: Header=BB0_27 Depth=1
	s_mov_b64 s[46:47], exec
	v_mbcnt_lo_u32_b32 v0, s46, 0
	v_mbcnt_hi_u32_b32 v0, s47, v0
	v_cmp_eq_u32_e32 vcc, 0, v0
	s_waitcnt vmcnt(0) lgkmcnt(0)
	buffer_wbinvl1_vol
	s_and_saveexec_b64 s[44:45], vcc
	s_cbranch_execz .LBB0_48
; %bb.47:                               ;   in Loop: Header=BB0_27 Depth=1
	s_bcnt1_i32_b64 vcc_lo, s[46:47]
	v_mov_b32_e32 v42, vcc_lo
	ds_add_u64 v0, v[42:43]
	s_trap 2
.LBB0_48:                               ;   in Loop: Header=BB0_27 Depth=1
	s_or_b64 exec, exec, s[44:45]
	s_trap 2
	ds_read_b64 v[0:1], v0
	v_accvgpr_read_b32 v4, a32
	v_add_co_u32_e32 v54, vcc, v54, v4
	v_accvgpr_read_b32 v5, a29
	v_addc_co_u32_e32 v55, vcc, v55, v5, vcc
	s_waitcnt lgkmcnt(0)
	v_cmp_lt_u64_e32 vcc, v[0:1], v[54:55]
	s_and_saveexec_b64 s[44:45], vcc
	s_cbranch_execz .LBB0_57
; %bb.49:                               ;   in Loop: Header=BB0_27 Depth=1
	s_mov_b32 s56, 0
	s_mov_b64 s[46:47], 0
                                        ; implicit-def: $sgpr48_sgpr49
                                        ; implicit-def: $sgpr50_sgpr51
	s_branch .LBB0_51
.LBB0_50:                               ;   in Loop: Header=BB0_51 Depth=2
	s_or_b64 exec, exec, s[54:55]
	s_and_b64 vcc, exec, vcc
	s_or_b64 s[46:47], vcc, s[46:47]
	s_andn2_b64 vcc, s[48:49], exec
	s_and_b64 s[48:49], s[50:51], exec
	s_or_b64 s[48:49], vcc, s[48:49]
	s_andn2_b64 exec, exec, s[46:47]
	s_cbranch_execz .LBB0_55
.LBB0_51:                               ;   Parent Loop BB0_27 Depth=1
                                        ; =>  This Inner Loop Header: Depth=2
	s_add_i32 s56, s56, 1
	s_cmpk_lg_i32 s56, 0x2710
	s_cselect_b64 s[52:53], -1, 0
	s_and_b64 vcc, exec, s[52:53]
                                        ; implicit-def: $sgpr54_sgpr55
	s_cbranch_vccnz .LBB0_53
; %bb.52:                               ;   in Loop: Header=BB0_51 Depth=2
	s_trap 2
	ds_read_b64 v[0:1], v0
	s_andn2_b64 s[52:53], s[52:53], exec
	s_mov_b32 s56, 0
	s_mov_b64 s[54:55], -1
	s_waitcnt lgkmcnt(0)
	flat_load_dword v0, v[0:1] glc
	s_waitcnt vmcnt(0) lgkmcnt(0)
	buffer_invl2
	buffer_wbinvl1_vol
	v_cmp_eq_u32_e32 vcc, 0, v0
	s_and_b64 vcc, vcc, exec
	s_or_b64 s[52:53], s[52:53], vcc
.LBB0_53:                               ;   in Loop: Header=BB0_51 Depth=2
	s_andn2_b64 s[50:51], s[50:51], exec
	s_and_b64 s[54:55], s[54:55], exec
	s_mov_b64 vcc, -1
	s_or_b64 s[50:51], s[50:51], s[54:55]
	s_and_saveexec_b64 s[54:55], s[52:53]
	s_cbranch_execz .LBB0_50
; %bb.54:                               ;   in Loop: Header=BB0_51 Depth=2
	s_sleep 1
	s_trap 2
	ds_read_b64 v[0:1], v0
	s_andn2_b64 s[50:51], s[50:51], exec
	s_waitcnt lgkmcnt(0)
	v_cmp_ge_u64_e32 vcc, v[0:1], v[54:55]
	s_orn2_b64 vcc, vcc, exec
	s_branch .LBB0_50
.LBB0_55:                               ;   in Loop: Header=BB0_27 Depth=1
	s_or_b64 exec, exec, s[46:47]
	s_and_saveexec_b64 vcc, s[48:49]
	s_xor_b64 vcc, exec, vcc
	s_cbranch_execz .LBB0_57
; %bb.56:                               ;   in Loop: Header=BB0_27 Depth=1
	v_mov_b32_e32 v0, 1
	ds_write_b32 v0, v0
	s_trap 2
.LBB0_57:                               ;   in Loop: Header=BB0_27 Depth=1
	s_or_b64 exec, exec, s[44:45]
	;;#ASMSTART
	s_wakeup
	;;#ASMEND
.LBB0_58:                               ;   in Loop: Header=BB0_27 Depth=1
	s_or_b64 exec, exec, s[42:43]
.LBB0_59:                               ;   in Loop: Header=BB0_27 Depth=1
	s_andn2_saveexec_b64 s[18:19], s[18:19]
	s_cbranch_execz .LBB0_61
; %bb.60:                               ;   in Loop: Header=BB0_27 Depth=1
	s_waitcnt vmcnt(0) lgkmcnt(0)
	buffer_wbinvl1_vol
	s_barrier
.LBB0_61:                               ;   in Loop: Header=BB0_27 Depth=1
	s_or_b64 exec, exec, s[18:19]
.LBB0_62:                               ;   in Loop: Header=BB0_27 Depth=1
	s_or_b64 exec, exec, s[16:17]
	v_accvgpr_read_b32 v0, a34
	v_sub_u32_e32 v32, v3, v0
	v_cmp_lt_i32_e64 s[16:17], 0, v32
	v_and_b32_e32 v1, 7, v16
	v_accvgpr_read_b32 v0, a2
	s_and_saveexec_b64 s[42:43], s[16:17]
	s_cbranch_execz .LBB0_214
; %bb.63:                               ;   in Loop: Header=BB0_27 Depth=1
	v_accvgpr_read_b32 v22, a40
	s_waitcnt vmcnt(0) lgkmcnt(0)
	v_ashrrev_i32_e32 v0, 31, v2
	v_accvgpr_read_b32 v18, a3
	v_accvgpr_read_b32 v23, a41
	;; [unrolled: 1-line block ×3, first 2 shown]
	v_mul_lo_u32 v4, v1, s58
	v_mad_u64_u32 v[10:11], s[18:19], v18, v2, v[22:23]
	v_mul_lo_u32 v9, v9, v2
	v_mul_lo_u32 v0, v18, v0
	v_ashrrev_i32_e32 v5, 31, v4
	v_mov_b32_e32 v3, v16
	v_add_co_u32_e64 v8, vcc, 0, 0
	v_add3_u32 v11, v9, v11, v0
	v_mul_lo_u32 v0, v18, v2
	v_addc_co_u32_e32 v3, vcc, 1, v3, vcc
	v_add_lshl_u32 v9, v22, v0, 3
	v_lshlrev_b64 v[4:5], 4, v[4:5]
	v_accvgpr_read_b32 v0, a42
	v_add_co_u32_e32 v18, vcc, v0, v4
	v_accvgpr_read_b32 v0, a43
	v_addc_co_u32_e32 v19, vcc, v0, v5, vcc
	s_mov_b64 s[44:45], 0
	v_mov_b32_e32 v21, v32
	v_accvgpr_read_b32 v0, a2
	s_branch .LBB0_65
.LBB0_64:                               ;   in Loop: Header=BB0_65 Depth=2
	s_or_b64 exec, exec, s[18:19]
	v_and_b32_e32 v2, 0xff, v26
	v_lshlrev_b32_e32 v2, 16, v2
	v_lshlrev_b32_e32 v5, 8, v25
	v_perm_b32 v22, v29, v28, s66
	v_add_co_u32_e32 v10, vcc, v10, v56
	v_lshl_or_b32 v2, v27, 24, v2
	v_perm_b32 v5, v5, v24, s65
	v_lshlrev_b32_e32 v4, 24, v4
	v_lshl_or_b32 v22, v31, 16, v22
	v_sub_u32_e32 v21, v21, v56
	v_addc_co_u32_e32 v11, vcc, v11, v45, vcc
	v_or3_b32 v2, v2, v5, v8
	v_or3_b32 v4, v22, v4, v8
	v_mov_b32_e32 v5, v3
	v_cmp_gt_i32_e32 vcc, 1, v21
	global_store_dwordx4 v[18:19], v[2:5], off
	s_or_b64 s[44:45], vcc, s[44:45]
	v_add_co_u32_e32 v18, vcc, v18, v58
	v_add_u32_e32 v0, v0, v20
	v_add_u32_e32 v9, v9, v38
	v_addc_co_u32_e32 v19, vcc, v19, v59, vcc
	s_andn2_b64 exec, exec, s[44:45]
	s_cbranch_execz .LBB0_213
.LBB0_65:                               ;   Parent Loop BB0_27 Depth=1
                                        ; =>  This Inner Loop Header: Depth=2
	v_and_b32_e32 v4, -4, v10
	v_mov_b32_e32 v5, v11
	global_load_dword v26, v[4:5], off glc slc
	v_min_u32_e32 v22, 8, v21
	v_and_b32_e32 v23, 3, v10
	v_add_co_u32_e32 v24, vcc, v23, v22
	v_addc_co_u32_e64 v25, s[18:19], 0, 0, vcc
	v_mov_b32_e32 v2, 0
	v_cmp_lt_u64_e32 vcc, 4, v[24:25]
	v_mov_b32_e32 v28, 0
	s_and_saveexec_b64 s[18:19], vcc
	s_cbranch_execz .LBB0_67
; %bb.66:                               ;   in Loop: Header=BB0_65 Depth=2
	global_load_dword v28, v[4:5], off offset:4 glc slc
.LBB0_67:                               ;   in Loop: Header=BB0_65 Depth=2
	s_or_b64 exec, exec, s[18:19]
	v_cmp_lt_u64_e32 vcc, 8, v[24:25]
	v_mov_b32_e32 v29, 0
	s_and_saveexec_b64 s[18:19], vcc
	s_cbranch_execz .LBB0_69
; %bb.68:                               ;   in Loop: Header=BB0_65 Depth=2
	global_load_dword v29, v[4:5], off offset:8 glc slc
.LBB0_69:                               ;   in Loop: Header=BB0_65 Depth=2
	s_or_b64 exec, exec, s[18:19]
	s_waitcnt vmcnt(0)
	v_alignbit_b32 v42, v28, v26, v9
	v_cmp_ne_u16_sdwa vcc, v42, v43 src0_sel:BYTE_0 src1_sel:DWORD
	s_and_saveexec_b64 s[18:19], vcc
	s_cbranch_execz .LBB0_75
; %bb.70:                               ;   in Loop: Header=BB0_65 Depth=2
	v_cmp_ne_u16_sdwa vcc, v42, s61 src0_sel:BYTE_0 src1_sel:DWORD
	v_bfrev_b32_e32 v2, 1
	s_and_saveexec_b64 s[46:47], vcc
	s_cbranch_execz .LBB0_74
; %bb.71:                               ;   in Loop: Header=BB0_65 Depth=2
	v_and_b32_e32 v4, 0x7f, v42
	v_cmp_ne_u32_e32 vcc, s62, v4
	v_mov_b32_e32 v2, 0x7f800001
	s_and_saveexec_b64 s[48:49], vcc
	s_cbranch_execz .LBB0_73
; %bb.72:                               ;   in Loop: Header=BB0_65 Depth=2
	v_and_b32_e32 v2, 7, v42
	v_ffbh_u32_e32 v2, v2
	v_min_u32_e32 v2, 32, v2
	v_subrev_u32_e32 v22, 28, v2
	v_cmp_gt_u32_e32 vcc, 8, v4
	v_lshrrev_b32_e32 v5, 3, v4
	v_sub_u32_e32 v2, 29, v2
	v_cndmask_b32_e32 v4, 0, v22, vcc
	v_cndmask_b32_e32 v2, v5, v2, vcc
	v_lshlrev_b64 v[4:5], v4, v[42:43]
	v_lshlrev_b32_e32 v4, 20, v4
	v_lshlrev_b32_e32 v5, 24, v42
	v_and_b32_e32 v4, 0x700000, v4
	v_and_b32_e32 v5, 0x80000000, v5
	v_lshl_add_u32 v2, v2, 23, v47
	v_or3_b32 v2, v5, v2, v4
.LBB0_73:                               ;   in Loop: Header=BB0_65 Depth=2
	s_or_b64 exec, exec, s[48:49]
.LBB0_74:                               ;   in Loop: Header=BB0_65 Depth=2
	s_or_b64 exec, exec, s[46:47]
.LBB0_75:                               ;   in Loop: Header=BB0_65 Depth=2
	s_or_b64 exec, exec, s[18:19]
	v_mul_f32_e32 v25, v62, v2
	v_and_b32_sdwa v2, v25, s61 dst_sel:DWORD dst_unused:UNUSED_PAD src0_sel:BYTE_3 src1_sel:DWORD
	v_and_b32_e32 v22, 0x7f800000, v25
	v_mov_b32_e32 v23, v43
	v_and_b32_e32 v4, 0x7fffff, v25
	v_mov_b32_e32 v5, v43
	v_or_b32_e32 v24, 0x7e, v2
	v_cmp_ne_u64_e32 vcc, s[36:37], v[22:23]
	s_and_saveexec_b64 s[18:19], vcc
	s_xor_b64 s[46:47], exec, s[18:19]
	s_cbranch_execz .LBB0_85
; %bb.76:                               ;   in Loop: Header=BB0_65 Depth=2
	v_and_b32_e32 v22, 0x7fffffff, v25
	v_mov_b32_e32 v23, v43
	v_cmp_gt_u64_e32 vcc, s[38:39], v[22:23]
	s_and_saveexec_b64 s[48:49], vcc
	s_cbranch_execz .LBB0_84
; %bb.77:                               ;   in Loop: Header=BB0_65 Depth=2
	v_cmp_ne_u32_e32 vcc, 0, v25
	v_mov_b32_e32 v24, 0
	s_and_saveexec_b64 s[50:51], vcc
	s_cbranch_execz .LBB0_83
; %bb.78:                               ;   in Loop: Header=BB0_65 Depth=2
	v_bfe_u32 v22, v25, 23, 8
	v_cmp_eq_u32_e32 vcc, 0, v22
	v_add_u32_e32 v23, 0xffffff81, v22
	v_cmp_gt_u32_e64 s[18:19], s63, v22
	v_sub_u32_e32 v22, 0x79, v22
	v_cndmask_b32_e64 v22, 0, v22, s[18:19]
	v_cndmask_b32_e32 v27, v22, v6, vcc
	v_add_u32_e32 v22, 20, v27
	v_or_b32_e32 v24, 0x800000, v4
	v_cndmask_b32_e32 v26, v23, v30, vcc
	v_lshlrev_b64 v[22:23], v22, -1
	v_cndmask_b32_e32 v4, v24, v4, vcc
	v_not_b32_e32 v23, v23
	v_not_b32_e32 v22, v22
	v_add_u32_e32 v24, 19, v27
	v_and_b32_e32 v23, 0, v23
	v_and_b32_e32 v22, v4, v22
	v_lshlrev_b64 v[24:25], v24, 1
	v_lshrrev_b64 v[4:5], v27, v[4:5]
	v_cmp_eq_u64_e32 vcc, v[22:23], v[24:25]
	v_lshrrev_b32_e32 v22, 23, v4
	v_add3_u32 v26, v27, v26, v22
	v_bfe_u32 v22, v4, 20, 1
	v_add_u32_e32 v22, -1, v22
	v_cndmask_b32_e32 v22, 0, v22, vcc
	v_add_u32_e32 v22, v22, v4
	v_and_b32_e32 v22, 0xfffff, v22
	v_add_co_u32_e32 v4, vcc, v22, v4
	v_add_u32_e32 v25, 6, v26
	v_addc_co_u32_e32 v5, vcc, 0, v5, vcc
	v_cmp_ne_u32_e32 vcc, 0, v25
                                        ; implicit-def: $vgpr24
	s_and_saveexec_b64 s[18:19], vcc
	s_xor_b64 s[18:19], exec, s[18:19]
; %bb.79:                               ;   in Loop: Header=BB0_65 Depth=2
	v_add_u32_e32 v22, 7, v26
	v_cmp_lt_u64_e32 vcc, s[40:41], v[4:5]
	v_cndmask_b32_e32 v24, v25, v22, vcc
	v_cndmask_b32_e64 v22, 0, 1, vcc
	v_lshrrev_b64 v[4:5], v22, v[4:5]
; %bb.80:                               ;   in Loop: Header=BB0_65 Depth=2
	s_andn2_saveexec_b64 s[18:19], s[18:19]
; %bb.81:                               ;   in Loop: Header=BB0_65 Depth=2
	v_bfe_u32 v24, v4, 23, 1
; %bb.82:                               ;   in Loop: Header=BB0_65 Depth=2
	s_or_b64 exec, exec, s[18:19]
	v_lshrrev_b64 v[4:5], 20, v[4:5]
	v_cmp_gt_i32_e32 vcc, 16, v24
	v_cndmask_b32_e32 v5, 0, v5, vcc
	v_cndmask_b32_e32 v4, 7, v4, vcc
	v_cmp_eq_u64_e64 s[18:19], 0, v[4:5]
	v_min_i32_e32 v5, 15, v24
	v_cmp_eq_u32_e32 vcc, 0, v24
	v_lshlrev_b32_e32 v5, 3, v5
	v_and_or_b32 v4, v4, 7, v5
	s_and_b64 s[18:19], vcc, s[18:19]
	v_cndmask_b32_e64 v4, v4, 0, s[18:19]
	v_or_b32_e32 v24, v4, v2
.LBB0_83:                               ;   in Loop: Header=BB0_65 Depth=2
	s_or_b64 exec, exec, s[50:51]
.LBB0_84:                               ;   in Loop: Header=BB0_65 Depth=2
	s_or_b64 exec, exec, s[48:49]
                                        ; implicit-def: $vgpr25
                                        ; implicit-def: $vgpr4_vgpr5
.LBB0_85:                               ;   in Loop: Header=BB0_65 Depth=2
	s_andn2_saveexec_b64 s[18:19], s[46:47]
; %bb.86:                               ;   in Loop: Header=BB0_65 Depth=2
	v_or_b32_sdwa v2, v25, s62 dst_sel:DWORD dst_unused:UNUSED_PAD src0_sel:BYTE_3 src1_sel:DWORD
	v_cmp_eq_u64_e32 vcc, 0, v[4:5]
	v_cndmask_b32_e32 v24, v2, v24, vcc
; %bb.87:                               ;   in Loop: Header=BB0_65 Depth=2
	s_or_b64 exec, exec, s[18:19]
	v_lshrrev_b16_e32 v2, 8, v42
	v_cmp_ne_u16_e32 vcc, 0, v2
	v_mov_b32_e32 v4, 0
	s_and_saveexec_b64 s[18:19], vcc
	s_cbranch_execz .LBB0_93
; %bb.88:                               ;   in Loop: Header=BB0_65 Depth=2
	v_cmp_ne_u16_e32 vcc, s61, v2
	v_bfrev_b32_e32 v4, 1
	s_and_saveexec_b64 s[46:47], vcc
	s_cbranch_execz .LBB0_92
; %bb.89:                               ;   in Loop: Header=BB0_65 Depth=2
	v_and_b32_e32 v5, 0x7f, v2
	v_cmp_ne_u32_e32 vcc, s62, v5
	v_mov_b32_e32 v4, 0x7f800001
	s_and_saveexec_b64 s[48:49], vcc
	s_cbranch_execz .LBB0_91
; %bb.90:                               ;   in Loop: Header=BB0_65 Depth=2
	v_and_b32_e32 v4, 7, v2
	v_ffbh_u32_e32 v22, v4
	v_min_u32_e32 v26, 32, v22
	v_subrev_u32_e32 v22, 28, v26
	v_lshlrev_b64 v[22:23], v22, v[2:3]
	v_lshrrev_b32_e32 v25, 3, v5
	v_sub_u32_e32 v2, 29, v26
	v_and_b32_e32 v22, 7, v22
	v_cmp_gt_u32_e32 vcc, 8, v5
	v_cndmask_b32_e32 v2, v25, v2, vcc
	v_cndmask_b32_e32 v4, v4, v22, vcc
	v_lshlrev_b32_e32 v5, 16, v42
	v_lshlrev_b32_e32 v4, 20, v4
	v_and_b32_e32 v5, 0x80000000, v5
	v_lshl_add_u32 v2, v2, 23, v47
	v_or3_b32 v4, v5, v2, v4
.LBB0_91:                               ;   in Loop: Header=BB0_65 Depth=2
	s_or_b64 exec, exec, s[48:49]
.LBB0_92:                               ;   in Loop: Header=BB0_65 Depth=2
	s_or_b64 exec, exec, s[46:47]
.LBB0_93:                               ;   in Loop: Header=BB0_65 Depth=2
	s_or_b64 exec, exec, s[18:19]
	v_mul_f32_e32 v26, v62, v4
	v_and_b32_sdwa v2, v26, s61 dst_sel:DWORD dst_unused:UNUSED_PAD src0_sel:BYTE_3 src1_sel:DWORD
	v_and_b32_e32 v22, 0x7f800000, v26
	v_mov_b32_e32 v23, v43
	v_and_b32_e32 v4, 0x7fffff, v26
	v_mov_b32_e32 v5, v43
	v_or_b32_e32 v25, 0x7e, v2
	v_cmp_ne_u64_e32 vcc, s[36:37], v[22:23]
	s_and_saveexec_b64 s[18:19], vcc
	s_xor_b64 s[46:47], exec, s[18:19]
	s_cbranch_execz .LBB0_103
; %bb.94:                               ;   in Loop: Header=BB0_65 Depth=2
	v_and_b32_e32 v22, 0x7fffffff, v26
	v_mov_b32_e32 v23, v43
	v_cmp_gt_u64_e32 vcc, s[38:39], v[22:23]
	s_and_saveexec_b64 s[48:49], vcc
	s_cbranch_execz .LBB0_102
; %bb.95:                               ;   in Loop: Header=BB0_65 Depth=2
	v_cmp_ne_u32_e32 vcc, 0, v26
	v_mov_b32_e32 v25, 0
	s_and_saveexec_b64 s[50:51], vcc
	s_cbranch_execz .LBB0_101
; %bb.96:                               ;   in Loop: Header=BB0_65 Depth=2
	v_bfe_u32 v22, v26, 23, 8
	v_sub_u32_e32 v25, 0x79, v22
	v_cmp_gt_u32_e32 vcc, s63, v22
	v_cndmask_b32_e32 v25, 0, v25, vcc
	v_cmp_eq_u32_e32 vcc, 0, v22
	v_cndmask_b32_e32 v25, v25, v6, vcc
	v_add_u32_e32 v23, 0xffffff81, v22
	v_add_u32_e32 v22, 20, v25
	v_or_b32_e32 v26, 0x800000, v4
	v_cndmask_b32_e32 v27, v23, v30, vcc
	v_lshlrev_b64 v[22:23], v22, -1
	v_cndmask_b32_e32 v4, v26, v4, vcc
	v_not_b32_e32 v22, v22
	v_and_b32_e32 v22, v4, v22
	v_add_u32_e32 v26, 19, v25
	v_lshrrev_b64 v[4:5], v25, v[4:5]
	v_not_b32_e32 v23, v23
	v_lshlrev_b64 v[48:49], v26, 1
	v_lshrrev_b32_e32 v26, 23, v4
	v_and_b32_e32 v23, 0, v23
	v_add3_u32 v27, v25, v27, v26
	v_bfe_u32 v25, v4, 20, 1
	v_add_u32_e32 v25, -1, v25
	v_cmp_eq_u64_e32 vcc, v[22:23], v[48:49]
	v_cndmask_b32_e32 v22, 0, v25, vcc
	v_add_u32_e32 v22, v22, v4
	v_and_b32_e32 v22, 0xfffff, v22
	v_add_co_u32_e32 v4, vcc, v22, v4
	v_add_u32_e32 v26, 6, v27
	v_addc_co_u32_e32 v5, vcc, 0, v5, vcc
	v_cmp_ne_u32_e32 vcc, 0, v26
                                        ; implicit-def: $vgpr25
	s_and_saveexec_b64 s[18:19], vcc
	s_xor_b64 s[18:19], exec, s[18:19]
; %bb.97:                               ;   in Loop: Header=BB0_65 Depth=2
	v_add_u32_e32 v22, 7, v27
	v_cmp_lt_u64_e32 vcc, s[40:41], v[4:5]
	v_cndmask_b32_e32 v25, v26, v22, vcc
	v_cndmask_b32_e64 v22, 0, 1, vcc
	v_lshrrev_b64 v[4:5], v22, v[4:5]
; %bb.98:                               ;   in Loop: Header=BB0_65 Depth=2
	s_andn2_saveexec_b64 s[18:19], s[18:19]
; %bb.99:                               ;   in Loop: Header=BB0_65 Depth=2
	v_bfe_u32 v25, v4, 23, 1
; %bb.100:                              ;   in Loop: Header=BB0_65 Depth=2
	s_or_b64 exec, exec, s[18:19]
	v_lshrrev_b64 v[4:5], 20, v[4:5]
	v_cmp_gt_i32_e32 vcc, 16, v25
	v_cndmask_b32_e32 v5, 0, v5, vcc
	v_cndmask_b32_e32 v4, 7, v4, vcc
	v_cmp_eq_u64_e64 s[18:19], 0, v[4:5]
	v_min_i32_e32 v5, 15, v25
	v_cmp_eq_u32_e32 vcc, 0, v25
	v_lshlrev_b32_e32 v5, 3, v5
	v_and_or_b32 v4, v4, 7, v5
	s_and_b64 s[18:19], vcc, s[18:19]
	v_cndmask_b32_e64 v4, v4, 0, s[18:19]
	v_or_b32_e32 v25, v4, v2
.LBB0_101:                              ;   in Loop: Header=BB0_65 Depth=2
	s_or_b64 exec, exec, s[50:51]
.LBB0_102:                              ;   in Loop: Header=BB0_65 Depth=2
	s_or_b64 exec, exec, s[48:49]
                                        ; implicit-def: $vgpr26
                                        ; implicit-def: $vgpr4_vgpr5
.LBB0_103:                              ;   in Loop: Header=BB0_65 Depth=2
	s_andn2_saveexec_b64 s[18:19], s[46:47]
; %bb.104:                              ;   in Loop: Header=BB0_65 Depth=2
	v_or_b32_sdwa v2, v26, s62 dst_sel:DWORD dst_unused:UNUSED_PAD src0_sel:BYTE_3 src1_sel:DWORD
	v_cmp_eq_u64_e32 vcc, 0, v[4:5]
	v_cndmask_b32_e32 v25, v2, v25, vcc
; %bb.105:                              ;   in Loop: Header=BB0_65 Depth=2
	s_or_b64 exec, exec, s[18:19]
	v_and_b32_sdwa v5, v42, s60 dst_sel:DWORD dst_unused:UNUSED_PAD src0_sel:WORD_1 src1_sel:DWORD
	v_lshrrev_b32_e32 v2, 16, v42
	v_cmp_ne_u16_e32 vcc, 0, v5
	v_mov_b32_e32 v4, 0
	s_and_saveexec_b64 s[18:19], vcc
	s_cbranch_execz .LBB0_111
; %bb.106:                              ;   in Loop: Header=BB0_65 Depth=2
	v_cmp_ne_u16_e32 vcc, s61, v5
	v_bfrev_b32_e32 v4, 1
	s_and_saveexec_b64 s[46:47], vcc
	s_cbranch_execz .LBB0_110
; %bb.107:                              ;   in Loop: Header=BB0_65 Depth=2
	v_bfe_u32 v5, v42, 16, 7
	v_cmp_ne_u32_e32 vcc, s62, v5
	v_mov_b32_e32 v4, 0x7f800001
	s_and_saveexec_b64 s[48:49], vcc
	s_cbranch_execz .LBB0_109
; %bb.108:                              ;   in Loop: Header=BB0_65 Depth=2
	v_and_b32_e32 v4, 7, v2
	v_ffbh_u32_e32 v22, v4
	v_min_u32_e32 v27, 32, v22
	v_subrev_u32_e32 v22, 28, v27
	v_lshlrev_b64 v[22:23], v22, v[2:3]
	v_lshrrev_b32_e32 v26, 3, v5
	v_sub_u32_e32 v2, 29, v27
	v_and_b32_e32 v22, 7, v22
	v_cmp_gt_u32_e32 vcc, 8, v5
	v_cndmask_b32_e32 v2, v26, v2, vcc
	v_cndmask_b32_e32 v4, v4, v22, vcc
	v_lshlrev_b32_sdwa v5, v7, v42 dst_sel:DWORD dst_unused:UNUSED_PAD src0_sel:DWORD src1_sel:WORD_1
	v_lshlrev_b32_e32 v4, 20, v4
	v_and_b32_e32 v5, 0x80000000, v5
	v_lshl_add_u32 v2, v2, 23, v47
	v_or3_b32 v4, v5, v2, v4
.LBB0_109:                              ;   in Loop: Header=BB0_65 Depth=2
	s_or_b64 exec, exec, s[48:49]
.LBB0_110:                              ;   in Loop: Header=BB0_65 Depth=2
	s_or_b64 exec, exec, s[46:47]
.LBB0_111:                              ;   in Loop: Header=BB0_65 Depth=2
	s_or_b64 exec, exec, s[18:19]
	v_mul_f32_e32 v27, v62, v4
	v_and_b32_sdwa v2, v27, s61 dst_sel:DWORD dst_unused:UNUSED_PAD src0_sel:BYTE_3 src1_sel:DWORD
	v_and_b32_e32 v22, 0x7f800000, v27
	v_mov_b32_e32 v23, v43
	v_and_b32_e32 v4, 0x7fffff, v27
	v_mov_b32_e32 v5, v43
	v_or_b32_e32 v26, 0x7e, v2
	v_cmp_ne_u64_e32 vcc, s[36:37], v[22:23]
	s_and_saveexec_b64 s[18:19], vcc
	s_xor_b64 s[46:47], exec, s[18:19]
	s_cbranch_execz .LBB0_121
; %bb.112:                              ;   in Loop: Header=BB0_65 Depth=2
	v_and_b32_e32 v22, 0x7fffffff, v27
	v_mov_b32_e32 v23, v43
	v_cmp_gt_u64_e32 vcc, s[38:39], v[22:23]
	s_and_saveexec_b64 s[48:49], vcc
	s_cbranch_execz .LBB0_120
; %bb.113:                              ;   in Loop: Header=BB0_65 Depth=2
	v_cmp_ne_u32_e32 vcc, 0, v27
	v_mov_b32_e32 v26, 0
	s_and_saveexec_b64 s[50:51], vcc
	s_cbranch_execz .LBB0_119
; %bb.114:                              ;   in Loop: Header=BB0_65 Depth=2
	v_bfe_u32 v22, v27, 23, 8
	v_sub_u32_e32 v26, 0x79, v22
	v_cmp_gt_u32_e32 vcc, s63, v22
	v_cndmask_b32_e32 v26, 0, v26, vcc
	v_cmp_eq_u32_e32 vcc, 0, v22
	v_cndmask_b32_e32 v26, v26, v6, vcc
	v_add_u32_e32 v23, 0xffffff81, v22
	v_add_u32_e32 v22, 20, v26
	v_or_b32_e32 v27, 0x800000, v4
	v_cndmask_b32_e32 v31, v23, v30, vcc
	v_lshlrev_b64 v[22:23], v22, -1
	v_cndmask_b32_e32 v4, v27, v4, vcc
	v_not_b32_e32 v22, v22
	v_and_b32_e32 v22, v4, v22
	v_add_u32_e32 v27, 19, v26
	v_lshrrev_b64 v[4:5], v26, v[4:5]
	v_not_b32_e32 v23, v23
	v_lshlrev_b64 v[48:49], v27, 1
	v_lshrrev_b32_e32 v27, 23, v4
	v_and_b32_e32 v23, 0, v23
	v_add3_u32 v31, v26, v31, v27
	v_bfe_u32 v26, v4, 20, 1
	v_add_u32_e32 v26, -1, v26
	v_cmp_eq_u64_e32 vcc, v[22:23], v[48:49]
	v_cndmask_b32_e32 v22, 0, v26, vcc
	v_add_u32_e32 v22, v22, v4
	v_and_b32_e32 v22, 0xfffff, v22
	v_add_co_u32_e32 v4, vcc, v22, v4
	v_add_u32_e32 v27, 6, v31
	v_addc_co_u32_e32 v5, vcc, 0, v5, vcc
	v_cmp_ne_u32_e32 vcc, 0, v27
                                        ; implicit-def: $vgpr26
	s_and_saveexec_b64 s[18:19], vcc
	s_xor_b64 s[18:19], exec, s[18:19]
; %bb.115:                              ;   in Loop: Header=BB0_65 Depth=2
	v_add_u32_e32 v22, 7, v31
	v_cmp_lt_u64_e32 vcc, s[40:41], v[4:5]
	v_cndmask_b32_e32 v26, v27, v22, vcc
	v_cndmask_b32_e64 v22, 0, 1, vcc
	v_lshrrev_b64 v[4:5], v22, v[4:5]
; %bb.116:                              ;   in Loop: Header=BB0_65 Depth=2
	s_andn2_saveexec_b64 s[18:19], s[18:19]
; %bb.117:                              ;   in Loop: Header=BB0_65 Depth=2
	v_bfe_u32 v26, v4, 23, 1
; %bb.118:                              ;   in Loop: Header=BB0_65 Depth=2
	s_or_b64 exec, exec, s[18:19]
	v_lshrrev_b64 v[4:5], 20, v[4:5]
	v_cmp_gt_i32_e32 vcc, 16, v26
	v_cndmask_b32_e32 v5, 0, v5, vcc
	v_cndmask_b32_e32 v4, 7, v4, vcc
	v_cmp_eq_u64_e64 s[18:19], 0, v[4:5]
	v_min_i32_e32 v5, 15, v26
	v_cmp_eq_u32_e32 vcc, 0, v26
	v_lshlrev_b32_e32 v5, 3, v5
	v_and_or_b32 v4, v4, 7, v5
	s_and_b64 s[18:19], vcc, s[18:19]
	v_cndmask_b32_e64 v4, v4, 0, s[18:19]
	v_or_b32_e32 v26, v4, v2
.LBB0_119:                              ;   in Loop: Header=BB0_65 Depth=2
	s_or_b64 exec, exec, s[50:51]
.LBB0_120:                              ;   in Loop: Header=BB0_65 Depth=2
	s_or_b64 exec, exec, s[48:49]
                                        ; implicit-def: $vgpr27
                                        ; implicit-def: $vgpr4_vgpr5
.LBB0_121:                              ;   in Loop: Header=BB0_65 Depth=2
	s_andn2_saveexec_b64 s[18:19], s[46:47]
; %bb.122:                              ;   in Loop: Header=BB0_65 Depth=2
	v_or_b32_sdwa v2, v27, s62 dst_sel:DWORD dst_unused:UNUSED_PAD src0_sel:BYTE_3 src1_sel:DWORD
	v_cmp_eq_u64_e32 vcc, 0, v[4:5]
	v_cndmask_b32_e32 v26, v2, v26, vcc
; %bb.123:                              ;   in Loop: Header=BB0_65 Depth=2
	s_or_b64 exec, exec, s[18:19]
	v_cmp_lt_u32_e32 vcc, s64, v42
	v_mov_b32_e32 v4, 0
	s_and_saveexec_b64 s[18:19], vcc
	s_cbranch_execz .LBB0_129
; %bb.124:                              ;   in Loop: Header=BB0_65 Depth=2
	v_lshrrev_b32_e32 v2, 24, v42
	v_cmp_ne_u32_sdwa vcc, v42, s61 src0_sel:BYTE_3 src1_sel:DWORD
	v_bfrev_b32_e32 v4, 1
	s_and_saveexec_b64 s[46:47], vcc
	s_cbranch_execz .LBB0_128
; %bb.125:                              ;   in Loop: Header=BB0_65 Depth=2
	v_bfe_u32 v5, v42, 24, 7
	v_cmp_ne_u32_e32 vcc, s62, v5
	v_mov_b32_e32 v4, 0x7f800001
	s_and_saveexec_b64 s[48:49], vcc
	s_cbranch_execz .LBB0_127
; %bb.126:                              ;   in Loop: Header=BB0_65 Depth=2
	v_and_b32_e32 v4, 7, v2
	v_ffbh_u32_e32 v22, v4
	v_min_u32_e32 v31, 32, v22
	v_subrev_u32_e32 v22, 28, v31
	v_lshlrev_b64 v[22:23], v22, v[2:3]
	v_lshrrev_b32_e32 v27, 3, v5
	v_sub_u32_e32 v2, 29, v31
	v_and_b32_e32 v22, 7, v22
	v_cmp_gt_u32_e32 vcc, 8, v5
	v_cndmask_b32_e32 v2, v27, v2, vcc
	v_cndmask_b32_e32 v4, v4, v22, vcc
	v_lshlrev_b32_sdwa v5, v7, v42 dst_sel:DWORD dst_unused:UNUSED_PAD src0_sel:DWORD src1_sel:BYTE_3
	v_lshlrev_b32_e32 v4, 20, v4
	v_and_b32_e32 v5, 0x80000000, v5
	v_lshl_add_u32 v2, v2, 23, v47
	v_or3_b32 v4, v5, v2, v4
.LBB0_127:                              ;   in Loop: Header=BB0_65 Depth=2
	s_or_b64 exec, exec, s[48:49]
.LBB0_128:                              ;   in Loop: Header=BB0_65 Depth=2
	s_or_b64 exec, exec, s[46:47]
.LBB0_129:                              ;   in Loop: Header=BB0_65 Depth=2
	s_or_b64 exec, exec, s[18:19]
	v_mul_f32_e32 v4, v62, v4
	v_and_b32_sdwa v2, v4, s61 dst_sel:DWORD dst_unused:UNUSED_PAD src0_sel:BYTE_3 src1_sel:DWORD
	v_and_b32_e32 v22, 0x7f800000, v4
	v_mov_b32_e32 v23, v43
	v_and_b32_e32 v42, 0x7fffff, v4
	v_or_b32_e32 v27, 0x7e, v2
	v_cmp_ne_u64_e32 vcc, s[36:37], v[22:23]
	s_and_saveexec_b64 s[18:19], vcc
	s_xor_b64 s[46:47], exec, s[18:19]
	s_cbranch_execz .LBB0_139
; %bb.130:                              ;   in Loop: Header=BB0_65 Depth=2
	v_and_b32_e32 v22, 0x7fffffff, v4
	v_mov_b32_e32 v23, v43
	v_cmp_gt_u64_e32 vcc, s[38:39], v[22:23]
	s_and_saveexec_b64 s[48:49], vcc
	s_cbranch_execz .LBB0_138
; %bb.131:                              ;   in Loop: Header=BB0_65 Depth=2
	v_cmp_ne_u32_e32 vcc, 0, v4
	v_mov_b32_e32 v27, 0
	s_and_saveexec_b64 s[50:51], vcc
	s_cbranch_execz .LBB0_137
; %bb.132:                              ;   in Loop: Header=BB0_65 Depth=2
	v_bfe_u32 v4, v4, 23, 8
	v_sub_u32_e32 v22, 0x79, v4
	v_cmp_gt_u32_e32 vcc, s63, v4
	v_cndmask_b32_e32 v22, 0, v22, vcc
	v_cmp_eq_u32_e32 vcc, 0, v4
	v_or_b32_e32 v23, 0x800000, v42
	v_cndmask_b32_e32 v31, v22, v6, vcc
	v_add_u32_e32 v5, 0xffffff81, v4
	v_cndmask_b32_e32 v42, v23, v42, vcc
	v_add_u32_e32 v4, 20, v31
	v_cndmask_b32_e32 v27, v5, v30, vcc
	v_lshlrev_b64 v[4:5], v4, -1
	v_lshrrev_b64 v[48:49], v31, v[42:43]
	v_not_b32_e32 v5, v5
	v_not_b32_e32 v4, v4
	v_add_u32_e32 v22, 19, v31
	v_lshrrev_b32_e32 v33, 23, v48
	v_and_b32_e32 v5, 0, v5
	v_and_b32_e32 v4, v42, v4
	v_lshlrev_b64 v[22:23], v22, 1
	v_add3_u32 v33, v31, v27, v33
	v_bfe_u32 v27, v48, 20, 1
	v_add_u32_e32 v27, -1, v27
	v_cmp_eq_u64_e32 vcc, v[4:5], v[22:23]
	v_cndmask_b32_e32 v4, 0, v27, vcc
	v_add_u32_e32 v4, v4, v48
	v_and_b32_e32 v4, 0xfffff, v4
	v_add_co_u32_e32 v4, vcc, v4, v48
	v_add_u32_e32 v31, 6, v33
	v_addc_co_u32_e32 v5, vcc, 0, v49, vcc
	v_cmp_ne_u32_e32 vcc, 0, v31
                                        ; implicit-def: $vgpr27
	s_and_saveexec_b64 s[18:19], vcc
	s_xor_b64 s[18:19], exec, s[18:19]
; %bb.133:                              ;   in Loop: Header=BB0_65 Depth=2
	v_add_u32_e32 v22, 7, v33
	v_cmp_lt_u64_e32 vcc, s[40:41], v[4:5]
	v_cndmask_b32_e32 v27, v31, v22, vcc
	v_cndmask_b32_e64 v22, 0, 1, vcc
	v_lshrrev_b64 v[4:5], v22, v[4:5]
; %bb.134:                              ;   in Loop: Header=BB0_65 Depth=2
	s_andn2_saveexec_b64 s[18:19], s[18:19]
; %bb.135:                              ;   in Loop: Header=BB0_65 Depth=2
	v_bfe_u32 v27, v4, 23, 1
; %bb.136:                              ;   in Loop: Header=BB0_65 Depth=2
	s_or_b64 exec, exec, s[18:19]
	v_lshrrev_b64 v[4:5], 20, v[4:5]
	v_cmp_gt_i32_e32 vcc, 16, v27
	v_cndmask_b32_e32 v5, 0, v5, vcc
	v_cndmask_b32_e32 v4, 7, v4, vcc
	v_cmp_eq_u64_e64 s[18:19], 0, v[4:5]
	v_min_i32_e32 v5, 15, v27
	v_cmp_eq_u32_e32 vcc, 0, v27
	v_lshlrev_b32_e32 v5, 3, v5
	v_and_or_b32 v4, v4, 7, v5
	s_and_b64 s[18:19], vcc, s[18:19]
	v_cndmask_b32_e64 v4, v4, 0, s[18:19]
	v_or_b32_e32 v27, v4, v2
.LBB0_137:                              ;   in Loop: Header=BB0_65 Depth=2
	s_or_b64 exec, exec, s[50:51]
.LBB0_138:                              ;   in Loop: Header=BB0_65 Depth=2
	s_or_b64 exec, exec, s[48:49]
                                        ; implicit-def: $vgpr4
.LBB0_139:                              ;   in Loop: Header=BB0_65 Depth=2
	s_andn2_saveexec_b64 s[18:19], s[46:47]
; %bb.140:                              ;   in Loop: Header=BB0_65 Depth=2
	v_or_b32_sdwa v2, v4, s62 dst_sel:DWORD dst_unused:UNUSED_PAD src0_sel:BYTE_3 src1_sel:DWORD
	v_cmp_eq_u64_e32 vcc, 0, v[42:43]
	v_cndmask_b32_e32 v27, v2, v27, vcc
; %bb.141:                              ;   in Loop: Header=BB0_65 Depth=2
	s_or_b64 exec, exec, s[18:19]
	v_alignbit_b32 v42, v29, v28, v9
	v_cmp_ne_u16_sdwa vcc, v42, v43 src0_sel:BYTE_0 src1_sel:DWORD
	v_mov_b32_e32 v2, 0
	s_and_saveexec_b64 s[18:19], vcc
	s_cbranch_execz .LBB0_147
; %bb.142:                              ;   in Loop: Header=BB0_65 Depth=2
	v_cmp_ne_u16_sdwa vcc, v42, s61 src0_sel:BYTE_0 src1_sel:DWORD
	v_bfrev_b32_e32 v2, 1
	s_and_saveexec_b64 s[46:47], vcc
	s_cbranch_execz .LBB0_146
; %bb.143:                              ;   in Loop: Header=BB0_65 Depth=2
	v_and_b32_e32 v4, 0x7f, v42
	v_cmp_ne_u32_e32 vcc, s62, v4
	v_mov_b32_e32 v2, 0x7f800001
	s_and_saveexec_b64 s[48:49], vcc
	s_cbranch_execz .LBB0_145
; %bb.144:                              ;   in Loop: Header=BB0_65 Depth=2
	v_and_b32_e32 v2, 7, v42
	v_ffbh_u32_e32 v2, v2
	v_min_u32_e32 v2, 32, v2
	v_subrev_u32_e32 v22, 28, v2
	v_cmp_gt_u32_e32 vcc, 8, v4
	v_lshrrev_b32_e32 v5, 3, v4
	v_sub_u32_e32 v2, 29, v2
	v_cndmask_b32_e32 v4, 0, v22, vcc
	v_cndmask_b32_e32 v2, v5, v2, vcc
	v_lshlrev_b64 v[4:5], v4, v[42:43]
	v_lshlrev_b32_e32 v4, 20, v4
	v_lshlrev_b32_e32 v5, 24, v42
	v_and_b32_e32 v4, 0x700000, v4
	v_and_b32_e32 v5, 0x80000000, v5
	v_lshl_add_u32 v2, v2, 23, v47
	v_or3_b32 v2, v5, v2, v4
.LBB0_145:                              ;   in Loop: Header=BB0_65 Depth=2
	s_or_b64 exec, exec, s[48:49]
.LBB0_146:                              ;   in Loop: Header=BB0_65 Depth=2
	s_or_b64 exec, exec, s[46:47]
.LBB0_147:                              ;   in Loop: Header=BB0_65 Depth=2
	s_or_b64 exec, exec, s[18:19]
	v_mul_f32_e32 v29, v62, v2
	v_and_b32_sdwa v2, v29, s61 dst_sel:DWORD dst_unused:UNUSED_PAD src0_sel:BYTE_3 src1_sel:DWORD
	v_and_b32_e32 v22, 0x7f800000, v29
	v_mov_b32_e32 v23, v43
	v_and_b32_e32 v4, 0x7fffff, v29
	v_mov_b32_e32 v5, v43
	v_or_b32_e32 v28, 0x7e, v2
	v_cmp_ne_u64_e32 vcc, s[36:37], v[22:23]
	s_and_saveexec_b64 s[18:19], vcc
	s_xor_b64 s[46:47], exec, s[18:19]
	s_cbranch_execz .LBB0_157
; %bb.148:                              ;   in Loop: Header=BB0_65 Depth=2
	v_and_b32_e32 v22, 0x7fffffff, v29
	v_mov_b32_e32 v23, v43
	v_cmp_gt_u64_e32 vcc, s[38:39], v[22:23]
	s_and_saveexec_b64 s[48:49], vcc
	s_cbranch_execz .LBB0_156
; %bb.149:                              ;   in Loop: Header=BB0_65 Depth=2
	v_cmp_ne_u32_e32 vcc, 0, v29
	v_mov_b32_e32 v28, 0
	s_and_saveexec_b64 s[50:51], vcc
	s_cbranch_execz .LBB0_155
; %bb.150:                              ;   in Loop: Header=BB0_65 Depth=2
	v_bfe_u32 v22, v29, 23, 8
	v_sub_u32_e32 v28, 0x79, v22
	v_cmp_gt_u32_e32 vcc, s63, v22
	v_cndmask_b32_e32 v28, 0, v28, vcc
	v_cmp_eq_u32_e32 vcc, 0, v22
	v_cndmask_b32_e32 v28, v28, v6, vcc
	v_add_u32_e32 v23, 0xffffff81, v22
	v_add_u32_e32 v22, 20, v28
	v_or_b32_e32 v29, 0x800000, v4
	v_cndmask_b32_e32 v31, v23, v30, vcc
	v_lshlrev_b64 v[22:23], v22, -1
	v_cndmask_b32_e32 v4, v29, v4, vcc
	v_not_b32_e32 v22, v22
	v_and_b32_e32 v22, v4, v22
	v_add_u32_e32 v29, 19, v28
	v_lshrrev_b64 v[4:5], v28, v[4:5]
	v_not_b32_e32 v23, v23
	v_lshlrev_b64 v[48:49], v29, 1
	v_lshrrev_b32_e32 v29, 23, v4
	v_and_b32_e32 v23, 0, v23
	v_add3_u32 v31, v28, v31, v29
	v_bfe_u32 v28, v4, 20, 1
	v_add_u32_e32 v28, -1, v28
	v_cmp_eq_u64_e32 vcc, v[22:23], v[48:49]
	v_cndmask_b32_e32 v22, 0, v28, vcc
	v_add_u32_e32 v22, v22, v4
	v_and_b32_e32 v22, 0xfffff, v22
	v_add_co_u32_e32 v4, vcc, v22, v4
	v_add_u32_e32 v29, 6, v31
	v_addc_co_u32_e32 v5, vcc, 0, v5, vcc
	v_cmp_ne_u32_e32 vcc, 0, v29
                                        ; implicit-def: $vgpr28
	s_and_saveexec_b64 s[18:19], vcc
	s_xor_b64 s[18:19], exec, s[18:19]
; %bb.151:                              ;   in Loop: Header=BB0_65 Depth=2
	v_add_u32_e32 v22, 7, v31
	v_cmp_lt_u64_e32 vcc, s[40:41], v[4:5]
	v_cndmask_b32_e32 v28, v29, v22, vcc
	v_cndmask_b32_e64 v22, 0, 1, vcc
	v_lshrrev_b64 v[4:5], v22, v[4:5]
; %bb.152:                              ;   in Loop: Header=BB0_65 Depth=2
	s_andn2_saveexec_b64 s[18:19], s[18:19]
; %bb.153:                              ;   in Loop: Header=BB0_65 Depth=2
	v_bfe_u32 v28, v4, 23, 1
; %bb.154:                              ;   in Loop: Header=BB0_65 Depth=2
	s_or_b64 exec, exec, s[18:19]
	v_lshrrev_b64 v[4:5], 20, v[4:5]
	v_cmp_gt_i32_e32 vcc, 16, v28
	v_cndmask_b32_e32 v5, 0, v5, vcc
	v_cndmask_b32_e32 v4, 7, v4, vcc
	v_cmp_eq_u64_e64 s[18:19], 0, v[4:5]
	v_min_i32_e32 v5, 15, v28
	v_cmp_eq_u32_e32 vcc, 0, v28
	v_lshlrev_b32_e32 v5, 3, v5
	v_and_or_b32 v4, v4, 7, v5
	s_and_b64 s[18:19], vcc, s[18:19]
	v_cndmask_b32_e64 v4, v4, 0, s[18:19]
	v_or_b32_e32 v28, v4, v2
.LBB0_155:                              ;   in Loop: Header=BB0_65 Depth=2
	s_or_b64 exec, exec, s[50:51]
.LBB0_156:                              ;   in Loop: Header=BB0_65 Depth=2
	s_or_b64 exec, exec, s[48:49]
                                        ; implicit-def: $vgpr29
                                        ; implicit-def: $vgpr4_vgpr5
.LBB0_157:                              ;   in Loop: Header=BB0_65 Depth=2
	s_andn2_saveexec_b64 s[18:19], s[46:47]
; %bb.158:                              ;   in Loop: Header=BB0_65 Depth=2
	v_or_b32_sdwa v2, v29, s62 dst_sel:DWORD dst_unused:UNUSED_PAD src0_sel:BYTE_3 src1_sel:DWORD
	v_cmp_eq_u64_e32 vcc, 0, v[4:5]
	v_cndmask_b32_e32 v28, v2, v28, vcc
; %bb.159:                              ;   in Loop: Header=BB0_65 Depth=2
	s_or_b64 exec, exec, s[18:19]
	v_lshrrev_b16_e32 v2, 8, v42
	v_cmp_ne_u16_e32 vcc, 0, v2
	v_mov_b32_e32 v4, 0
	s_and_saveexec_b64 s[18:19], vcc
	s_cbranch_execz .LBB0_165
; %bb.160:                              ;   in Loop: Header=BB0_65 Depth=2
	v_cmp_ne_u16_e32 vcc, s61, v2
	v_bfrev_b32_e32 v4, 1
	s_and_saveexec_b64 s[46:47], vcc
	s_cbranch_execz .LBB0_164
; %bb.161:                              ;   in Loop: Header=BB0_65 Depth=2
	v_and_b32_e32 v5, 0x7f, v2
	v_cmp_ne_u32_e32 vcc, s62, v5
	v_mov_b32_e32 v4, 0x7f800001
	s_and_saveexec_b64 s[48:49], vcc
	s_cbranch_execz .LBB0_163
; %bb.162:                              ;   in Loop: Header=BB0_65 Depth=2
	v_and_b32_e32 v4, 7, v2
	v_ffbh_u32_e32 v22, v4
	v_min_u32_e32 v31, 32, v22
	v_subrev_u32_e32 v22, 28, v31
	v_lshlrev_b64 v[22:23], v22, v[2:3]
	v_lshrrev_b32_e32 v29, 3, v5
	v_sub_u32_e32 v2, 29, v31
	v_and_b32_e32 v22, 7, v22
	v_cmp_gt_u32_e32 vcc, 8, v5
	v_cndmask_b32_e32 v2, v29, v2, vcc
	v_cndmask_b32_e32 v4, v4, v22, vcc
	v_lshlrev_b32_e32 v5, 16, v42
	v_lshlrev_b32_e32 v4, 20, v4
	v_and_b32_e32 v5, 0x80000000, v5
	v_lshl_add_u32 v2, v2, 23, v47
	v_or3_b32 v4, v5, v2, v4
.LBB0_163:                              ;   in Loop: Header=BB0_65 Depth=2
	s_or_b64 exec, exec, s[48:49]
.LBB0_164:                              ;   in Loop: Header=BB0_65 Depth=2
	s_or_b64 exec, exec, s[46:47]
.LBB0_165:                              ;   in Loop: Header=BB0_65 Depth=2
	s_or_b64 exec, exec, s[18:19]
	v_mul_f32_e32 v31, v62, v4
	v_and_b32_sdwa v2, v31, s61 dst_sel:DWORD dst_unused:UNUSED_PAD src0_sel:BYTE_3 src1_sel:DWORD
	v_and_b32_e32 v22, 0x7f800000, v31
	v_mov_b32_e32 v23, v43
	v_and_b32_e32 v4, 0x7fffff, v31
	v_mov_b32_e32 v5, v43
	v_or_b32_e32 v29, 0x7e, v2
	v_cmp_ne_u64_e32 vcc, s[36:37], v[22:23]
	s_and_saveexec_b64 s[18:19], vcc
	s_xor_b64 s[46:47], exec, s[18:19]
	s_cbranch_execz .LBB0_175
; %bb.166:                              ;   in Loop: Header=BB0_65 Depth=2
	v_and_b32_e32 v22, 0x7fffffff, v31
	v_mov_b32_e32 v23, v43
	v_cmp_gt_u64_e32 vcc, s[38:39], v[22:23]
	s_and_saveexec_b64 s[48:49], vcc
	s_cbranch_execz .LBB0_174
; %bb.167:                              ;   in Loop: Header=BB0_65 Depth=2
	v_cmp_ne_u32_e32 vcc, 0, v31
	v_mov_b32_e32 v29, 0
	s_and_saveexec_b64 s[50:51], vcc
	s_cbranch_execz .LBB0_173
; %bb.168:                              ;   in Loop: Header=BB0_65 Depth=2
	v_bfe_u32 v22, v31, 23, 8
	v_sub_u32_e32 v29, 0x79, v22
	v_cmp_gt_u32_e32 vcc, s63, v22
	v_cndmask_b32_e32 v29, 0, v29, vcc
	v_cmp_eq_u32_e32 vcc, 0, v22
	v_cndmask_b32_e32 v29, v29, v6, vcc
	v_add_u32_e32 v23, 0xffffff81, v22
	v_add_u32_e32 v22, 20, v29
	v_or_b32_e32 v31, 0x800000, v4
	v_cndmask_b32_e32 v33, v23, v30, vcc
	v_lshlrev_b64 v[22:23], v22, -1
	v_cndmask_b32_e32 v4, v31, v4, vcc
	v_not_b32_e32 v22, v22
	v_and_b32_e32 v22, v4, v22
	v_add_u32_e32 v31, 19, v29
	v_lshrrev_b64 v[4:5], v29, v[4:5]
	v_not_b32_e32 v23, v23
	v_lshlrev_b64 v[48:49], v31, 1
	v_lshrrev_b32_e32 v31, 23, v4
	v_and_b32_e32 v23, 0, v23
	v_add3_u32 v33, v29, v33, v31
	v_bfe_u32 v29, v4, 20, 1
	v_add_u32_e32 v29, -1, v29
	v_cmp_eq_u64_e32 vcc, v[22:23], v[48:49]
	v_cndmask_b32_e32 v22, 0, v29, vcc
	v_add_u32_e32 v22, v22, v4
	v_and_b32_e32 v22, 0xfffff, v22
	v_add_co_u32_e32 v4, vcc, v22, v4
	v_add_u32_e32 v31, 6, v33
	v_addc_co_u32_e32 v5, vcc, 0, v5, vcc
	v_cmp_ne_u32_e32 vcc, 0, v31
                                        ; implicit-def: $vgpr29
	s_and_saveexec_b64 s[18:19], vcc
	s_xor_b64 s[18:19], exec, s[18:19]
; %bb.169:                              ;   in Loop: Header=BB0_65 Depth=2
	v_add_u32_e32 v22, 7, v33
	v_cmp_lt_u64_e32 vcc, s[40:41], v[4:5]
	v_cndmask_b32_e32 v29, v31, v22, vcc
	v_cndmask_b32_e64 v22, 0, 1, vcc
	v_lshrrev_b64 v[4:5], v22, v[4:5]
; %bb.170:                              ;   in Loop: Header=BB0_65 Depth=2
	s_andn2_saveexec_b64 s[18:19], s[18:19]
; %bb.171:                              ;   in Loop: Header=BB0_65 Depth=2
	v_bfe_u32 v29, v4, 23, 1
; %bb.172:                              ;   in Loop: Header=BB0_65 Depth=2
	s_or_b64 exec, exec, s[18:19]
	v_lshrrev_b64 v[4:5], 20, v[4:5]
	v_cmp_gt_i32_e32 vcc, 16, v29
	v_cndmask_b32_e32 v5, 0, v5, vcc
	v_cndmask_b32_e32 v4, 7, v4, vcc
	v_cmp_eq_u64_e64 s[18:19], 0, v[4:5]
	v_min_i32_e32 v5, 15, v29
	v_lshlrev_b32_e32 v5, 3, v5
	v_cmp_eq_u32_e32 vcc, 0, v29
	v_and_b32_e32 v5, 0xf8, v5
	v_and_or_b32 v4, v4, 7, v5
	s_and_b64 s[18:19], vcc, s[18:19]
	v_cndmask_b32_e64 v4, v4, 0, s[18:19]
	v_or_b32_e32 v29, v4, v2
.LBB0_173:                              ;   in Loop: Header=BB0_65 Depth=2
	s_or_b64 exec, exec, s[50:51]
.LBB0_174:                              ;   in Loop: Header=BB0_65 Depth=2
	s_or_b64 exec, exec, s[48:49]
                                        ; implicit-def: $vgpr31
                                        ; implicit-def: $vgpr4_vgpr5
.LBB0_175:                              ;   in Loop: Header=BB0_65 Depth=2
	s_andn2_saveexec_b64 s[18:19], s[46:47]
; %bb.176:                              ;   in Loop: Header=BB0_65 Depth=2
	v_or_b32_sdwa v2, v31, s62 dst_sel:DWORD dst_unused:UNUSED_PAD src0_sel:BYTE_3 src1_sel:DWORD
	v_cmp_eq_u64_e32 vcc, 0, v[4:5]
	v_cndmask_b32_e32 v29, v2, v29, vcc
; %bb.177:                              ;   in Loop: Header=BB0_65 Depth=2
	s_or_b64 exec, exec, s[18:19]
	v_and_b32_sdwa v5, v42, s60 dst_sel:DWORD dst_unused:UNUSED_PAD src0_sel:WORD_1 src1_sel:DWORD
	v_lshrrev_b32_e32 v2, 16, v42
	v_cmp_ne_u16_e32 vcc, 0, v5
	v_mov_b32_e32 v4, 0
	s_and_saveexec_b64 s[18:19], vcc
	s_cbranch_execz .LBB0_183
; %bb.178:                              ;   in Loop: Header=BB0_65 Depth=2
	v_cmp_ne_u16_e32 vcc, s61, v5
	v_bfrev_b32_e32 v4, 1
	s_and_saveexec_b64 s[46:47], vcc
	s_cbranch_execz .LBB0_182
; %bb.179:                              ;   in Loop: Header=BB0_65 Depth=2
	v_bfe_u32 v5, v42, 16, 7
	v_cmp_ne_u32_e32 vcc, s62, v5
	v_mov_b32_e32 v4, 0x7f800001
	s_and_saveexec_b64 s[48:49], vcc
	s_cbranch_execz .LBB0_181
; %bb.180:                              ;   in Loop: Header=BB0_65 Depth=2
	v_and_b32_e32 v4, 7, v2
	v_ffbh_u32_e32 v22, v4
	v_min_u32_e32 v33, 32, v22
	v_subrev_u32_e32 v22, 28, v33
	v_lshlrev_b64 v[22:23], v22, v[2:3]
	v_lshrrev_b32_e32 v31, 3, v5
	v_sub_u32_e32 v2, 29, v33
	v_and_b32_e32 v22, 7, v22
	v_cmp_gt_u32_e32 vcc, 8, v5
	v_cndmask_b32_e32 v2, v31, v2, vcc
	v_cndmask_b32_e32 v4, v4, v22, vcc
	v_lshlrev_b32_sdwa v5, v7, v42 dst_sel:DWORD dst_unused:UNUSED_PAD src0_sel:DWORD src1_sel:WORD_1
	v_lshlrev_b32_e32 v4, 20, v4
	v_and_b32_e32 v5, 0x80000000, v5
	v_lshl_add_u32 v2, v2, 23, v47
	v_or3_b32 v4, v5, v2, v4
.LBB0_181:                              ;   in Loop: Header=BB0_65 Depth=2
	s_or_b64 exec, exec, s[48:49]
.LBB0_182:                              ;   in Loop: Header=BB0_65 Depth=2
	s_or_b64 exec, exec, s[46:47]
.LBB0_183:                              ;   in Loop: Header=BB0_65 Depth=2
	s_or_b64 exec, exec, s[18:19]
	v_mul_f32_e32 v33, v62, v4
	v_and_b32_sdwa v2, v33, s61 dst_sel:DWORD dst_unused:UNUSED_PAD src0_sel:BYTE_3 src1_sel:DWORD
	v_and_b32_e32 v22, 0x7f800000, v33
	v_mov_b32_e32 v23, v43
	v_and_b32_e32 v4, 0x7fffff, v33
	v_mov_b32_e32 v5, v43
	v_or_b32_e32 v31, 0x7e, v2
	v_cmp_ne_u64_e32 vcc, s[36:37], v[22:23]
	s_and_saveexec_b64 s[18:19], vcc
	s_xor_b64 s[46:47], exec, s[18:19]
	s_cbranch_execz .LBB0_193
; %bb.184:                              ;   in Loop: Header=BB0_65 Depth=2
	v_and_b32_e32 v22, 0x7fffffff, v33
	v_mov_b32_e32 v23, v43
	v_cmp_gt_u64_e32 vcc, s[38:39], v[22:23]
	s_and_saveexec_b64 s[48:49], vcc
	s_cbranch_execz .LBB0_192
; %bb.185:                              ;   in Loop: Header=BB0_65 Depth=2
	v_cmp_ne_u32_e32 vcc, 0, v33
	v_mov_b32_e32 v31, 0
	s_and_saveexec_b64 s[50:51], vcc
	s_cbranch_execz .LBB0_191
; %bb.186:                              ;   in Loop: Header=BB0_65 Depth=2
	v_bfe_u32 v22, v33, 23, 8
	v_sub_u32_e32 v31, 0x79, v22
	v_cmp_gt_u32_e32 vcc, s63, v22
	v_cndmask_b32_e32 v31, 0, v31, vcc
	v_cmp_eq_u32_e32 vcc, 0, v22
	v_cndmask_b32_e32 v31, v31, v6, vcc
	v_add_u32_e32 v23, 0xffffff81, v22
	v_add_u32_e32 v22, 20, v31
	v_or_b32_e32 v33, 0x800000, v4
	v_cndmask_b32_e32 v36, v23, v30, vcc
	v_lshlrev_b64 v[22:23], v22, -1
	v_cndmask_b32_e32 v4, v33, v4, vcc
	v_not_b32_e32 v22, v22
	v_and_b32_e32 v22, v4, v22
	v_add_u32_e32 v33, 19, v31
	v_lshrrev_b64 v[4:5], v31, v[4:5]
	v_not_b32_e32 v23, v23
	v_lshlrev_b64 v[60:61], v33, 1
	v_lshrrev_b32_e32 v33, 23, v4
	v_and_b32_e32 v23, 0, v23
	v_add3_u32 v48, v31, v36, v33
	v_bfe_u32 v31, v4, 20, 1
	v_add_u32_e32 v31, -1, v31
	v_cmp_eq_u64_e32 vcc, v[22:23], v[60:61]
	v_cndmask_b32_e32 v22, 0, v31, vcc
	v_add_u32_e32 v22, v22, v4
	v_and_b32_e32 v22, 0xfffff, v22
	v_add_co_u32_e32 v4, vcc, v22, v4
	v_add_u32_e32 v33, 6, v48
	v_addc_co_u32_e32 v5, vcc, 0, v5, vcc
	v_cmp_ne_u32_e32 vcc, 0, v33
                                        ; implicit-def: $vgpr31
	s_and_saveexec_b64 s[18:19], vcc
	s_xor_b64 s[18:19], exec, s[18:19]
; %bb.187:                              ;   in Loop: Header=BB0_65 Depth=2
	v_add_u32_e32 v22, 7, v48
	v_cmp_lt_u64_e32 vcc, s[40:41], v[4:5]
	v_cndmask_b32_e32 v31, v33, v22, vcc
	v_cndmask_b32_e64 v22, 0, 1, vcc
	v_lshrrev_b64 v[4:5], v22, v[4:5]
; %bb.188:                              ;   in Loop: Header=BB0_65 Depth=2
	s_andn2_saveexec_b64 s[18:19], s[18:19]
; %bb.189:                              ;   in Loop: Header=BB0_65 Depth=2
	v_bfe_u32 v31, v4, 23, 1
; %bb.190:                              ;   in Loop: Header=BB0_65 Depth=2
	s_or_b64 exec, exec, s[18:19]
	v_lshrrev_b64 v[4:5], 20, v[4:5]
	v_cmp_gt_i32_e32 vcc, 16, v31
	v_cndmask_b32_e32 v5, 0, v5, vcc
	v_cndmask_b32_e32 v4, 7, v4, vcc
	v_cmp_eq_u64_e64 s[18:19], 0, v[4:5]
	v_min_i32_e32 v5, 15, v31
	v_lshlrev_b32_e32 v5, 3, v5
	v_cmp_eq_u32_e32 vcc, 0, v31
	v_and_b32_e32 v5, 0xf8, v5
	v_and_or_b32 v4, v4, 7, v5
	s_and_b64 s[18:19], vcc, s[18:19]
	v_cndmask_b32_e64 v4, v4, 0, s[18:19]
	v_or_b32_e32 v31, v4, v2
.LBB0_191:                              ;   in Loop: Header=BB0_65 Depth=2
	s_or_b64 exec, exec, s[50:51]
.LBB0_192:                              ;   in Loop: Header=BB0_65 Depth=2
	s_or_b64 exec, exec, s[48:49]
                                        ; implicit-def: $vgpr33
                                        ; implicit-def: $vgpr4_vgpr5
.LBB0_193:                              ;   in Loop: Header=BB0_65 Depth=2
	s_andn2_saveexec_b64 s[18:19], s[46:47]
; %bb.194:                              ;   in Loop: Header=BB0_65 Depth=2
	v_or_b32_sdwa v2, v33, s62 dst_sel:DWORD dst_unused:UNUSED_PAD src0_sel:BYTE_3 src1_sel:DWORD
	v_cmp_eq_u64_e32 vcc, 0, v[4:5]
	v_cndmask_b32_e32 v31, v2, v31, vcc
; %bb.195:                              ;   in Loop: Header=BB0_65 Depth=2
	s_or_b64 exec, exec, s[18:19]
	v_cmp_lt_u32_e32 vcc, s64, v42
	v_mov_b32_e32 v4, 0
	s_and_saveexec_b64 s[18:19], vcc
	s_cbranch_execz .LBB0_201
; %bb.196:                              ;   in Loop: Header=BB0_65 Depth=2
	v_lshrrev_b32_e32 v2, 24, v42
	v_cmp_ne_u32_sdwa vcc, v42, s61 src0_sel:BYTE_3 src1_sel:DWORD
	v_bfrev_b32_e32 v4, 1
	s_and_saveexec_b64 s[46:47], vcc
	s_cbranch_execz .LBB0_200
; %bb.197:                              ;   in Loop: Header=BB0_65 Depth=2
	v_bfe_u32 v5, v42, 24, 7
	v_cmp_ne_u32_e32 vcc, s62, v5
	v_mov_b32_e32 v4, 0x7f800001
	s_and_saveexec_b64 s[48:49], vcc
	s_cbranch_execz .LBB0_199
; %bb.198:                              ;   in Loop: Header=BB0_65 Depth=2
	v_and_b32_e32 v4, 7, v2
	v_ffbh_u32_e32 v22, v4
	v_min_u32_e32 v36, 32, v22
	v_subrev_u32_e32 v22, 28, v36
	v_lshlrev_b64 v[22:23], v22, v[2:3]
	v_lshrrev_b32_e32 v33, 3, v5
	v_sub_u32_e32 v2, 29, v36
	v_and_b32_e32 v22, 7, v22
	v_cmp_gt_u32_e32 vcc, 8, v5
	v_cndmask_b32_e32 v2, v33, v2, vcc
	v_cndmask_b32_e32 v4, v4, v22, vcc
	v_lshlrev_b32_sdwa v5, v7, v42 dst_sel:DWORD dst_unused:UNUSED_PAD src0_sel:DWORD src1_sel:BYTE_3
	v_lshlrev_b32_e32 v4, 20, v4
	v_and_b32_e32 v5, 0x80000000, v5
	v_lshl_add_u32 v2, v2, 23, v47
	v_or3_b32 v4, v5, v2, v4
.LBB0_199:                              ;   in Loop: Header=BB0_65 Depth=2
	s_or_b64 exec, exec, s[48:49]
.LBB0_200:                              ;   in Loop: Header=BB0_65 Depth=2
	s_or_b64 exec, exec, s[46:47]
.LBB0_201:                              ;   in Loop: Header=BB0_65 Depth=2
	s_or_b64 exec, exec, s[18:19]
	v_mul_f32_e32 v5, v62, v4
	v_and_b32_sdwa v2, v5, s61 dst_sel:DWORD dst_unused:UNUSED_PAD src0_sel:BYTE_3 src1_sel:DWORD
	v_and_b32_e32 v22, 0x7f800000, v5
	v_mov_b32_e32 v23, v43
	v_and_b32_e32 v42, 0x7fffff, v5
	v_or_b32_e32 v4, 0x7e, v2
	v_cmp_ne_u64_e32 vcc, s[36:37], v[22:23]
	s_and_saveexec_b64 s[18:19], vcc
	s_xor_b64 s[46:47], exec, s[18:19]
	s_cbranch_execz .LBB0_211
; %bb.202:                              ;   in Loop: Header=BB0_65 Depth=2
	v_and_b32_e32 v22, 0x7fffffff, v5
	v_mov_b32_e32 v23, v43
	v_cmp_gt_u64_e32 vcc, s[38:39], v[22:23]
	s_and_saveexec_b64 s[48:49], vcc
	s_cbranch_execz .LBB0_210
; %bb.203:                              ;   in Loop: Header=BB0_65 Depth=2
	v_cmp_ne_u32_e32 vcc, 0, v5
	v_mov_b32_e32 v4, 0
	s_and_saveexec_b64 s[50:51], vcc
	s_cbranch_execz .LBB0_209
; %bb.204:                              ;   in Loop: Header=BB0_65 Depth=2
	v_bfe_u32 v4, v5, 23, 8
	v_sub_u32_e32 v22, 0x79, v4
	v_cmp_gt_u32_e32 vcc, s63, v4
	v_cndmask_b32_e32 v22, 0, v22, vcc
	v_cmp_eq_u32_e32 vcc, 0, v4
	v_or_b32_e32 v23, 0x800000, v42
	v_cndmask_b32_e32 v36, v22, v6, vcc
	v_add_u32_e32 v5, 0xffffff81, v4
	v_cndmask_b32_e32 v42, v23, v42, vcc
	v_add_u32_e32 v4, 20, v36
	v_cndmask_b32_e32 v33, v5, v30, vcc
	v_lshlrev_b64 v[4:5], v4, -1
	v_lshrrev_b64 v[60:61], v36, v[42:43]
	v_not_b32_e32 v5, v5
	v_not_b32_e32 v4, v4
	v_add_u32_e32 v22, 19, v36
	v_lshrrev_b32_e32 v37, 23, v60
	v_and_b32_e32 v5, 0, v5
	v_and_b32_e32 v4, v42, v4
	v_lshlrev_b64 v[22:23], v22, 1
	v_add3_u32 v49, v36, v33, v37
	v_bfe_u32 v33, v60, 20, 1
	v_add_u32_e32 v33, -1, v33
	v_cmp_eq_u64_e32 vcc, v[4:5], v[22:23]
	v_cndmask_b32_e32 v4, 0, v33, vcc
	v_add_u32_e32 v4, v4, v60
	v_and_b32_e32 v4, 0xfffff, v4
	v_add_co_u32_e32 v4, vcc, v4, v60
	v_add_u32_e32 v48, 6, v49
	v_addc_co_u32_e32 v5, vcc, 0, v61, vcc
	v_cmp_ne_u32_e32 vcc, 0, v48
                                        ; implicit-def: $vgpr33
	s_and_saveexec_b64 s[18:19], vcc
	s_xor_b64 s[18:19], exec, s[18:19]
; %bb.205:                              ;   in Loop: Header=BB0_65 Depth=2
	v_add_u32_e32 v22, 7, v49
	v_cmp_lt_u64_e32 vcc, s[40:41], v[4:5]
	v_cndmask_b32_e32 v33, v48, v22, vcc
	v_cndmask_b32_e64 v22, 0, 1, vcc
	v_lshrrev_b64 v[4:5], v22, v[4:5]
; %bb.206:                              ;   in Loop: Header=BB0_65 Depth=2
	s_andn2_saveexec_b64 s[18:19], s[18:19]
; %bb.207:                              ;   in Loop: Header=BB0_65 Depth=2
	v_bfe_u32 v33, v4, 23, 1
; %bb.208:                              ;   in Loop: Header=BB0_65 Depth=2
	s_or_b64 exec, exec, s[18:19]
	v_lshrrev_b64 v[4:5], 20, v[4:5]
	v_cmp_gt_i32_e32 vcc, 16, v33
	v_cndmask_b32_e32 v5, 0, v5, vcc
	v_cndmask_b32_e32 v4, 7, v4, vcc
	v_cmp_eq_u64_e64 s[18:19], 0, v[4:5]
	v_min_i32_e32 v5, 15, v33
	v_lshlrev_b32_e32 v5, 3, v5
	v_cmp_eq_u32_e32 vcc, 0, v33
	v_and_b32_e32 v5, 0xf8, v5
	v_and_or_b32 v4, v4, 7, v5
	s_and_b64 s[18:19], vcc, s[18:19]
	v_cndmask_b32_e64 v4, v4, 0, s[18:19]
	v_or_b32_e32 v4, v4, v2
.LBB0_209:                              ;   in Loop: Header=BB0_65 Depth=2
	s_or_b64 exec, exec, s[50:51]
.LBB0_210:                              ;   in Loop: Header=BB0_65 Depth=2
	s_or_b64 exec, exec, s[48:49]
                                        ; implicit-def: $vgpr5
.LBB0_211:                              ;   in Loop: Header=BB0_65 Depth=2
	s_andn2_saveexec_b64 s[18:19], s[46:47]
	s_cbranch_execz .LBB0_64
; %bb.212:                              ;   in Loop: Header=BB0_65 Depth=2
	v_or_b32_sdwa v2, v5, s62 dst_sel:DWORD dst_unused:UNUSED_PAD src0_sel:BYTE_3 src1_sel:DWORD
	v_cmp_eq_u64_e32 vcc, 0, v[42:43]
	v_cndmask_b32_e32 v4, v2, v4, vcc
	s_branch .LBB0_64
.LBB0_213:                              ;   in Loop: Header=BB0_27 Depth=1
	s_or_b64 exec, exec, s[44:45]
	v_accvgpr_read_b32 v8, a44
	v_accvgpr_read_b32 v9, a45
.LBB0_214:                              ;   in Loop: Header=BB0_27 Depth=1
	s_or_b64 exec, exec, s[42:43]
	v_and_b32_e32 v42, 0x7ffffff8, v16
	v_cmp_eq_u64_e32 vcc, s[34:35], v[42:43]
	v_cmp_gt_i32_e64 s[18:19], s58, v0
	s_and_b64 s[18:19], vcc, s[18:19]
	s_and_saveexec_b64 s[42:43], s[18:19]
	s_cbranch_execz .LBB0_217
; %bb.215:                              ;   in Loop: Header=BB0_27 Depth=1
	v_mul_lo_u32 v4, v1, s58
	v_mov_b32_e32 v1, v16
	s_waitcnt vmcnt(0) lgkmcnt(0)
	v_add_co_u32_e64 v2, vcc, 0, 0
	v_ashrrev_i32_e32 v5, 31, v4
	v_addc_co_u32_e32 v3, vcc, 1, v1, vcc
	v_ashrrev_i32_e32 v1, 31, v0
	v_lshlrev_b64 v[8:9], 4, v[0:1]
	v_lshlrev_b64 v[4:5], 4, v[4:5]
	v_add_co_u32_e32 v1, vcc, v8, v4
	v_addc_co_u32_e32 v4, vcc, v9, v5, vcc
	v_accvgpr_read_b32 v8, a20
	v_accvgpr_read_b32 v9, a21
	v_add_co_u32_e32 v10, vcc, v8, v1
	v_addc_co_u32_e32 v11, vcc, v9, v4, vcc
	v_accvgpr_read_b32 v8, a44
	v_accvgpr_read_b32 v9, a45
	s_mov_b64 s[44:45], 0
.LBB0_216:                              ;   Parent Loop BB0_27 Depth=1
                                        ; =>  This Inner Loop Header: Depth=2
	v_mov_b32_e32 v4, v2
	v_mov_b32_e32 v5, v3
	v_add_u32_e32 v0, v0, v20
	global_store_dwordx4 v[10:11], v[2:5], off
	v_cmp_le_i32_e32 vcc, s58, v0
	v_add_co_u32_e64 v10, s[18:19], v10, v58
	s_or_b64 s[44:45], vcc, s[44:45]
	v_addc_co_u32_e64 v11, vcc, v11, v59, s[18:19]
	s_andn2_b64 exec, exec, s[44:45]
	s_cbranch_execnz .LBB0_216
.LBB0_217:                              ;   in Loop: Header=BB0_27 Depth=1
	s_or_b64 exec, exec, s[42:43]
	v_accvgpr_read_b32 v0, a8
	v_accvgpr_read_b32 v1, a9
	v_add_co_u32_e32 v4, vcc, v8, v0
	v_addc_co_u32_e32 v5, vcc, v9, v1, vcc
	v_add_co_u32_e64 v28, s[18:19], 1, v16
	s_andn2_b64 vcc, exec, s[30:31]
	v_addc_co_u32_e64 v29, s[18:19], 0, v17, s[18:19]
	s_cbranch_vccnz .LBB0_635
; %bb.218:                              ;   in Loop: Header=BB0_27 Depth=1
	v_accvgpr_read_b32 v0, a35
	s_waitcnt vmcnt(0) lgkmcnt(0)
	v_add_co_u32_e32 v2, vcc, v0, v4
	v_accvgpr_read_b32 v0, a36
	v_addc_co_u32_e32 v3, vcc, v0, v5, vcc
	v_accvgpr_write_b32 a51, v3
	v_accvgpr_write_b32 a47, v4
	;; [unrolled: 1-line block ×4, first 2 shown]
	v_add_u16_e32 v41, 1, v16
	s_mov_b32 s70, 2
	s_branch .LBB0_220
.LBB0_219:                              ;   in Loop: Header=BB0_220 Depth=2
	s_or_b64 exec, exec, s[42:43]
	v_add_co_u32_e32 v34, vcc, 1, v34
	v_addc_co_u32_e32 v35, vcc, 0, v35, vcc
	s_add_i32 s70, s70, 1
	v_add_co_u32_e32 v28, vcc, 1, v28
	v_addc_co_u32_e32 v29, vcc, 0, v29, vcc
	s_cmp_eq_u32 s70, s20
	v_add_u16_e32 v41, 1, v41
	s_cbranch_scc1 .LBB0_636
.LBB0_220:                              ;   Parent Loop BB0_27 Depth=1
                                        ; =>  This Loop Header: Depth=2
                                        ;       Child Loop BB0_235 Depth 3
                                        ;       Child Loop BB0_251 Depth 3
	;; [unrolled: 1-line block ×3, first 2 shown]
                                        ;         Child Loop BB0_272 Depth 4
                                        ;       Child Loop BB0_624 Depth 3
                                        ;       Child Loop BB0_228 Depth 3
	s_sub_i32 s18, s20, s70
	s_ashr_i32 s19, s18, 31
	s_lshl_b64 s[18:19], s[18:19], 2
	s_waitcnt vmcnt(0) lgkmcnt(0)
	v_accvgpr_read_b32 v2, a6
	v_mov_b32_e32 v1, s19
	v_accvgpr_read_b32 v3, a7
	v_add_co_u32_e32 v0, vcc, s18, v2
	v_addc_co_u32_e32 v1, vcc, v3, v1, vcc
	flat_load_dword v2, v[0:1]
	s_and_saveexec_b64 s[18:19], s[6:7]
	s_cbranch_execnz .LBB0_229
; %bb.221:                              ;   in Loop: Header=BB0_220 Depth=2
	s_or_b64 exec, exec, s[18:19]
	s_and_saveexec_b64 s[18:19], s[10:11]
	s_cbranch_execnz .LBB0_244
.LBB0_222:                              ;   in Loop: Header=BB0_220 Depth=2
	s_or_b64 exec, exec, s[18:19]
	v_accvgpr_read_b32 v0, a2
	s_and_saveexec_b64 s[42:43], s[16:17]
	s_cbranch_execnz .LBB0_262
.LBB0_223:                              ;   in Loop: Header=BB0_220 Depth=2
	s_or_b64 exec, exec, s[42:43]
	s_and_saveexec_b64 s[18:19], s[10:11]
	s_cbranch_execnz .LBB0_617
.LBB0_224:                              ;   in Loop: Header=BB0_220 Depth=2
	s_or_b64 exec, exec, s[18:19]
	s_and_saveexec_b64 s[18:19], s[14:15]
	s_cbranch_execz .LBB0_226
.LBB0_225:                              ;   in Loop: Header=BB0_220 Depth=2
	s_waitcnt vmcnt(0) lgkmcnt(0)
	v_accvgpr_read_b32 v2, a22
	v_accvgpr_read_b32 v3, a23
	v_add_co_u32_e32 v2, vcc, 1, v2
	v_addc_co_u32_e32 v3, vcc, 0, v3, vcc
	v_accvgpr_write_b32 a23, v3
	v_accvgpr_read_b32 v4, a24
	v_accvgpr_write_b32 a22, v2
	v_accvgpr_read_b32 v5, a25
	flat_store_dwordx2 v[4:5], v[2:3]
.LBB0_226:                              ;   in Loop: Header=BB0_220 Depth=2
	s_or_b64 exec, exec, s[18:19]
	v_and_b32_e32 v42, 0x7ffffff8, v28
	v_cmp_eq_u64_e32 vcc, s[34:35], v[42:43]
	v_cmp_gt_i32_e64 s[18:19], s58, v0
	s_and_b64 s[18:19], vcc, s[18:19]
	s_and_saveexec_b64 s[42:43], s[18:19]
	s_cbranch_execz .LBB0_219
; %bb.227:                              ;   in Loop: Header=BB0_220 Depth=2
	v_and_b32_e32 v1, 7, v41
	s_waitcnt vmcnt(0) lgkmcnt(0)
	v_mul_lo_u32 v2, s58, v1
	v_ashrrev_i32_e32 v3, 31, v2
	v_lshlrev_b64 v[4:5], 4, v[2:3]
	v_mov_b32_e32 v1, v28
	v_add_co_u32_e64 v2, vcc, 0, 0
	v_addc_co_u32_e32 v3, vcc, 1, v1, vcc
	v_ashrrev_i32_e32 v1, 31, v0
	v_lshlrev_b64 v[8:9], 4, v[0:1]
	v_add_co_u32_e32 v1, vcc, v8, v4
	v_addc_co_u32_e32 v4, vcc, v9, v5, vcc
	v_accvgpr_read_b32 v8, a20
	v_accvgpr_read_b32 v9, a21
	v_add_co_u32_e32 v10, vcc, v8, v1
	v_addc_co_u32_e32 v11, vcc, v9, v4, vcc
	v_accvgpr_read_b32 v8, a44
	v_accvgpr_read_b32 v9, a45
	s_mov_b64 s[44:45], 0
.LBB0_228:                              ;   Parent Loop BB0_27 Depth=1
                                        ;     Parent Loop BB0_220 Depth=2
                                        ; =>    This Inner Loop Header: Depth=3
	v_mov_b32_e32 v4, v2
	v_mov_b32_e32 v5, v3
	v_add_u32_e32 v0, v0, v20
	global_store_dwordx4 v[10:11], v[2:5], off
	v_cmp_le_i32_e32 vcc, s58, v0
	v_add_co_u32_e64 v10, s[18:19], v10, v58
	s_or_b64 s[44:45], vcc, s[44:45]
	v_addc_co_u32_e64 v11, vcc, v11, v59, s[18:19]
	s_andn2_b64 exec, exec, s[44:45]
	s_cbranch_execnz .LBB0_228
	s_branch .LBB0_219
.LBB0_229:                              ;   in Loop: Header=BB0_220 Depth=2
	v_add_co_u32_e32 v0, vcc, 1, v14
	v_addc_co_u32_e32 v1, vcc, 0, v15, vcc
	v_add_co_u32_e32 v4, vcc, 8, v52
	v_addc_co_u32_e32 v5, vcc, 0, v53, vcc
	v_cmp_lt_u64_e32 vcc, v[4:5], v[0:1]
	s_and_saveexec_b64 s[42:43], vcc
	s_cbranch_execz .LBB0_241
; %bb.230:                              ;   in Loop: Header=BB0_220 Depth=2
	v_accvgpr_read_b32 v4, a26
	v_accvgpr_read_b32 v5, a27
	s_sleep 1
	flat_load_dwordx2 v[52:53], v[4:5] glc
	v_cmp_eq_u32_e32 vcc, 0, v40
	s_and_saveexec_b64 s[44:45], vcc
	s_cbranch_execz .LBB0_240
; %bb.231:                              ;   in Loop: Header=BB0_220 Depth=2
	v_cndmask_b32_e64 v3, 0, 1, vcc
	s_mov_b64 s[46:47], 0
                                        ; implicit-def: $sgpr48_sgpr49
	s_branch .LBB0_235
.LBB0_232:                              ;   in Loop: Header=BB0_235 Depth=3
	s_or_b64 exec, exec, s[56:57]
	s_orn2_b64 s[54:55], s[54:55], exec
.LBB0_233:                              ;   in Loop: Header=BB0_235 Depth=3
	s_or_b64 exec, exec, s[52:53]
	s_xor_b64 vcc, s[54:55], -1
	s_andn2_b64 s[48:49], s[48:49], exec
	s_and_b64 vcc, vcc, exec
	s_or_b64 s[48:49], s[48:49], vcc
.LBB0_234:                              ;   in Loop: Header=BB0_235 Depth=3
	s_or_b64 exec, exec, s[50:51]
	s_and_b64 vcc, exec, s[48:49]
	s_or_b64 s[46:47], vcc, s[46:47]
	s_andn2_b64 exec, exec, s[46:47]
	s_cbranch_execz .LBB0_239
.LBB0_235:                              ;   Parent Loop BB0_27 Depth=1
                                        ;     Parent Loop BB0_220 Depth=2
                                        ; =>    This Inner Loop Header: Depth=3
	s_waitcnt vmcnt(0) lgkmcnt(0)
	v_add_co_u32_e32 v4, vcc, 8, v52
	v_addc_co_u32_e32 v5, vcc, 0, v53, vcc
	v_cmp_lt_u64_e32 vcc, v[4:5], v[0:1]
	v_mov_b32_e32 v40, 0
	s_or_b64 s[48:49], s[48:49], exec
	s_and_saveexec_b64 s[50:51], vcc
	s_cbranch_execz .LBB0_234
; %bb.236:                              ;   in Loop: Header=BB0_235 Depth=3
	v_accvgpr_read_b32 v4, a26
	v_accvgpr_read_b32 v5, a27
	s_sleep 1
	flat_load_dwordx2 v[52:53], v[4:5] glc
	v_add_u32_e32 v3, 1, v3
	v_cmp_eq_u32_e32 vcc, s59, v3
	s_mov_b64 s[54:55], -1
	v_mov_b32_e32 v40, 0
	s_and_saveexec_b64 s[52:53], vcc
	s_cbranch_execz .LBB0_233
; %bb.237:                              ;   in Loop: Header=BB0_235 Depth=3
	s_trap 2
	ds_read_b64 v[4:5], v0
	v_mov_b32_e32 v3, 0
	v_mov_b32_e32 v40, 0
	s_waitcnt vmcnt(0) lgkmcnt(0)
	flat_load_dword v4, v[4:5] glc
	s_waitcnt vmcnt(0) lgkmcnt(0)
	buffer_invl2
	buffer_wbinvl1_vol
	v_cmp_ne_u32_e32 vcc, 0, v4
	s_and_saveexec_b64 s[56:57], vcc
	s_cbranch_execz .LBB0_232
; %bb.238:                              ;   in Loop: Header=BB0_235 Depth=3
	v_mov_b32_e32 v40, 1
	s_xor_b64 s[54:55], exec, -1
	ds_write_b32 v0, v4
	s_trap 2
	s_branch .LBB0_232
.LBB0_239:                              ;   in Loop: Header=BB0_220 Depth=2
	s_or_b64 exec, exec, s[46:47]
.LBB0_240:                              ;   in Loop: Header=BB0_220 Depth=2
	s_or_b64 exec, exec, s[44:45]
.LBB0_241:                              ;   in Loop: Header=BB0_220 Depth=2
	s_or_b64 exec, exec, s[42:43]
	s_and_saveexec_b64 s[42:43], s[8:9]
	s_cbranch_execz .LBB0_243
; %bb.242:                              ;   in Loop: Header=BB0_220 Depth=2
	v_and_b32_e32 v42, 0x7ffffff8, v14
	v_mov_b32_e32 v3, s21
	v_cmp_eq_u64_e32 vcc, s[34:35], v[42:43]
	v_accvgpr_read_b32 v4, a46
	v_cndmask_b32_e32 v4, v4, v3, vcc
	v_and_b32_e32 v3, 7, v14
	v_ashrrev_i32_e32 v5, 31, v4
	v_mad_u64_u32 v[8:9], vcc, v3, 24, v[12:13]
	flat_store_dwordx2 v[8:9], v[4:5] offset:8
	s_waitcnt vmcnt(0)
	v_accvgpr_read_b32 v8, a44
	v_accvgpr_read_b32 v9, a45
.LBB0_243:                              ;   in Loop: Header=BB0_220 Depth=2
	s_or_b64 exec, exec, s[42:43]
	v_pk_mov_b32 v[14:15], v[0:1], v[0:1] op_sel:[0,1]
	s_or_b64 exec, exec, s[18:19]
	s_and_saveexec_b64 s[18:19], s[10:11]
	s_cbranch_execz .LBB0_222
.LBB0_244:                              ;   in Loop: Header=BB0_220 Depth=2
	s_and_saveexec_b64 vcc, s[28:29]
	s_xor_b64 s[42:43], exec, vcc
	s_cbranch_execz .LBB0_259
; %bb.245:                              ;   in Loop: Header=BB0_220 Depth=2
	s_and_saveexec_b64 s[44:45], s[12:13]
	s_cbranch_execz .LBB0_258
; %bb.246:                              ;   in Loop: Header=BB0_220 Depth=2
	s_mov_b64 s[48:49], exec
	v_mbcnt_lo_u32_b32 v0, s48, 0
	v_mbcnt_hi_u32_b32 v0, s49, v0
	v_cmp_eq_u32_e32 vcc, 0, v0
	s_waitcnt vmcnt(0) lgkmcnt(0)
	buffer_wbinvl1_vol
	s_and_saveexec_b64 s[46:47], vcc
	s_cbranch_execz .LBB0_248
; %bb.247:                              ;   in Loop: Header=BB0_220 Depth=2
	s_bcnt1_i32_b64 vcc_lo, s[48:49]
	v_mov_b32_e32 v42, vcc_lo
	ds_add_u64 v0, v[42:43]
	s_trap 2
.LBB0_248:                              ;   in Loop: Header=BB0_220 Depth=2
	s_or_b64 exec, exec, s[46:47]
	s_trap 2
	ds_read_b64 v[0:1], v0
	v_accvgpr_read_b32 v4, a32
	v_add_co_u32_e32 v54, vcc, v54, v4
	v_accvgpr_read_b32 v3, a29
	v_addc_co_u32_e32 v55, vcc, v55, v3, vcc
	s_waitcnt lgkmcnt(0)
	v_cmp_lt_u64_e32 vcc, v[0:1], v[54:55]
	s_and_saveexec_b64 s[46:47], vcc
	s_cbranch_execz .LBB0_257
; %bb.249:                              ;   in Loop: Header=BB0_220 Depth=2
	s_mov_b32 s71, 0
	s_mov_b64 s[48:49], 0
                                        ; implicit-def: $sgpr50_sgpr51
                                        ; implicit-def: $sgpr52_sgpr53
	s_branch .LBB0_251
.LBB0_250:                              ;   in Loop: Header=BB0_251 Depth=3
	s_or_b64 exec, exec, s[56:57]
	s_and_b64 vcc, exec, vcc
	s_or_b64 s[48:49], vcc, s[48:49]
	s_andn2_b64 vcc, s[50:51], exec
	s_and_b64 s[50:51], s[52:53], exec
	s_or_b64 s[50:51], vcc, s[50:51]
	s_andn2_b64 exec, exec, s[48:49]
	s_cbranch_execz .LBB0_255
.LBB0_251:                              ;   Parent Loop BB0_27 Depth=1
                                        ;     Parent Loop BB0_220 Depth=2
                                        ; =>    This Inner Loop Header: Depth=3
	s_add_i32 s71, s71, 1
	s_cmpk_lg_i32 s71, 0x2710
	s_cselect_b64 s[54:55], -1, 0
	s_and_b64 vcc, exec, s[54:55]
                                        ; implicit-def: $sgpr56_sgpr57
	s_cbranch_vccnz .LBB0_253
; %bb.252:                              ;   in Loop: Header=BB0_251 Depth=3
	s_trap 2
	ds_read_b64 v[0:1], v0
	s_andn2_b64 s[54:55], s[54:55], exec
	s_mov_b32 s71, 0
	s_mov_b64 s[56:57], -1
	s_waitcnt lgkmcnt(0)
	flat_load_dword v0, v[0:1] glc
	s_waitcnt vmcnt(0) lgkmcnt(0)
	buffer_invl2
	buffer_wbinvl1_vol
	v_cmp_eq_u32_e32 vcc, 0, v0
	s_and_b64 vcc, vcc, exec
	s_or_b64 s[54:55], s[54:55], vcc
.LBB0_253:                              ;   in Loop: Header=BB0_251 Depth=3
	s_andn2_b64 s[52:53], s[52:53], exec
	s_and_b64 s[56:57], s[56:57], exec
	s_mov_b64 vcc, -1
	s_or_b64 s[52:53], s[52:53], s[56:57]
	s_and_saveexec_b64 s[56:57], s[54:55]
	s_cbranch_execz .LBB0_250
; %bb.254:                              ;   in Loop: Header=BB0_251 Depth=3
	s_sleep 1
	s_trap 2
	ds_read_b64 v[0:1], v0
	s_andn2_b64 s[52:53], s[52:53], exec
	s_waitcnt lgkmcnt(0)
	v_cmp_ge_u64_e32 vcc, v[0:1], v[54:55]
	s_orn2_b64 vcc, vcc, exec
	s_branch .LBB0_250
.LBB0_255:                              ;   in Loop: Header=BB0_220 Depth=2
	s_or_b64 exec, exec, s[48:49]
	s_and_saveexec_b64 vcc, s[50:51]
	s_xor_b64 vcc, exec, vcc
	s_cbranch_execz .LBB0_257
; %bb.256:                              ;   in Loop: Header=BB0_220 Depth=2
	v_mov_b32_e32 v0, 1
	ds_write_b32 v0, v0
	s_trap 2
.LBB0_257:                              ;   in Loop: Header=BB0_220 Depth=2
	s_or_b64 exec, exec, s[46:47]
	;;#ASMSTART
	s_wakeup
	;;#ASMEND
.LBB0_258:                              ;   in Loop: Header=BB0_220 Depth=2
	s_or_b64 exec, exec, s[44:45]
.LBB0_259:                              ;   in Loop: Header=BB0_220 Depth=2
	s_andn2_saveexec_b64 vcc, s[42:43]
	s_cbranch_execz .LBB0_261
; %bb.260:                              ;   in Loop: Header=BB0_220 Depth=2
	s_waitcnt vmcnt(0) lgkmcnt(0)
	buffer_wbinvl1_vol
	s_barrier
.LBB0_261:                              ;   in Loop: Header=BB0_220 Depth=2
	s_or_b64 exec, exec, vcc
	s_or_b64 exec, exec, s[18:19]
	v_accvgpr_read_b32 v0, a2
	s_and_saveexec_b64 s[42:43], s[16:17]
	s_cbranch_execz .LBB0_223
.LBB0_262:                              ;   in Loop: Header=BB0_220 Depth=2
	v_accvgpr_read_b32 v4, a50
	s_waitcnt vmcnt(0) lgkmcnt(0)
	v_ashrrev_i32_e32 v0, 31, v2
	v_accvgpr_read_b32 v3, a3
	v_accvgpr_read_b32 v5, a51
	v_accvgpr_read_b32 v1, a28
	v_mad_u64_u32 v[10:11], s[18:19], v3, v2, v[4:5]
	v_mul_lo_u32 v1, v1, v2
	v_mul_lo_u32 v0, v3, v0
	v_add3_u32 v11, v1, v11, v0
	v_and_b32_e32 v0, 7, v34
	v_mul_lo_u32 v0, v0, s58
	v_ashrrev_i32_e32 v1, 31, v0
	v_lshlrev_b64 v[0:1], 4, v[0:1]
	v_accvgpr_read_b32 v2, a18
	v_add_co_u32_e32 v46, vcc, v2, v0
	v_and_b32_e32 v0, 7, v28
	v_accvgpr_read_b32 v3, a19
	v_mul_lo_u32 v0, v0, s58
	v_addc_co_u32_e32 v48, vcc, v3, v1, vcc
	v_ashrrev_i32_e32 v1, 31, v0
	v_lshlrev_b64 v[0:1], 4, v[0:1]
	v_accvgpr_read_b32 v2, a20
	v_accvgpr_read_b32 v3, a21
	v_add_co_u32_e32 v57, vcc, v2, v0
	v_addc_co_u32_e32 v8, vcc, v3, v1, vcc
	v_mov_b32_e32 v1, v28
	v_add_co_u32_e64 v9, vcc, 0, 0
	v_add_u32_e32 v49, 1, v34
	v_addc_co_u32_e32 v3, vcc, 1, v1, vcc
	s_mov_b64 s[44:45], 0
	v_mov_b32_e32 v21, v32
	v_accvgpr_read_b32 v0, a2
	s_branch .LBB0_264
.LBB0_263:                              ;   in Loop: Header=BB0_264 Depth=3
	s_or_b64 exec, exec, s[18:19]
	v_lshlrev_b32_e32 v17, 8, v61
	v_add_co_u32_e32 v10, vcc, v10, v56
	v_perm_b32 v1, v17, v1, s65
	v_lshlrev_b32_e32 v17, 8, v26
	v_addc_co_u32_e32 v11, vcc, v11, v45, vcc
	v_lshlrev_b32_e32 v18, 24, v16
	v_perm_b32 v16, v17, v19, s65
	v_and_b32_e32 v2, 0xff, v24
	v_lshl_or_b32 v19, v27, 16, v16
	v_add_co_u32_e32 v16, vcc, v57, v4
	v_lshlrev_b32_e32 v2, 16, v2
	v_addc_co_u32_e32 v17, vcc, v8, v5, vcc
	v_sub_u32_e32 v21, v21, v56
	v_lshl_or_b32 v2, v25, 24, v2
	v_cmp_gt_i32_e32 vcc, 1, v21
	v_or3_b32 v2, v2, v1, v9
	v_or3_b32 v4, v18, v19, v9
	v_mov_b32_e32 v5, v3
	s_or_b64 s[44:45], vcc, s[44:45]
	v_add_u32_e32 v0, v0, v20
	global_store_dwordx4 v[16:17], v[2:5], off
	s_andn2_b64 exec, exec, s[44:45]
	s_cbranch_execz .LBB0_616
.LBB0_264:                              ;   Parent Loop BB0_27 Depth=1
                                        ;     Parent Loop BB0_220 Depth=2
                                        ; =>    This Loop Header: Depth=3
                                        ;         Child Loop BB0_272 Depth 4
	v_and_b32_e32 v4, -4, v10
	v_mov_b32_e32 v5, v11
	global_load_dword v2, v[4:5], off glc slc
	v_min_u32_e32 v1, 8, v21
	v_and_b32_e32 v16, 3, v10
	v_add_co_u32_e32 v16, vcc, v16, v1
	v_addc_co_u32_e64 v17, s[18:19], 0, 0, vcc
	v_mov_b32_e32 v26, 0
	v_cmp_lt_u64_e32 vcc, 4, v[16:17]
	v_mov_b32_e32 v27, 0
	s_and_saveexec_b64 s[18:19], vcc
	s_cbranch_execz .LBB0_266
; %bb.265:                              ;   in Loop: Header=BB0_264 Depth=3
	global_load_dword v27, v[4:5], off offset:4 glc slc
.LBB0_266:                              ;   in Loop: Header=BB0_264 Depth=3
	s_or_b64 exec, exec, s[18:19]
	v_cmp_lt_u64_e32 vcc, 8, v[16:17]
	s_and_saveexec_b64 s[18:19], vcc
	s_cbranch_execz .LBB0_268
; %bb.267:                              ;   in Loop: Header=BB0_264 Depth=3
	global_load_dword v26, v[4:5], off offset:8 glc slc
.LBB0_268:                              ;   in Loop: Header=BB0_264 Depth=3
	s_or_b64 exec, exec, s[18:19]
	v_ashrrev_i32_e32 v1, 31, v0
	v_lshlrev_b64 v[4:5], 4, v[0:1]
	v_add_co_u32_e32 v24, vcc, v46, v4
	v_addc_co_u32_e32 v25, vcc, v48, v5, vcc
	global_load_dwordx4 v[16:19], v[24:25], off glc slc
	v_cmp_eq_u32_e32 vcc, 0, v40
	s_and_saveexec_b64 s[46:47], vcc
	s_cbranch_execz .LBB0_280
; %bb.269:                              ;   in Loop: Header=BB0_264 Depth=3
	s_waitcnt vmcnt(0)
	v_cmp_ne_u32_e32 vcc, v49, v17
	v_cmp_ne_u32_e64 s[18:19], v49, v19
	s_or_b64 s[18:19], vcc, s[18:19]
	v_mov_b32_e32 v40, 0
	s_and_saveexec_b64 s[48:49], s[18:19]
	s_cbranch_execz .LBB0_279
; %bb.270:                              ;   in Loop: Header=BB0_264 Depth=3
	s_mov_b32 s54, 1
	s_mov_b64 s[50:51], 0
	v_mov_b32_e32 v40, 0
	s_branch .LBB0_272
.LBB0_271:                              ;   in Loop: Header=BB0_272 Depth=4
	s_or_b64 exec, exec, s[52:53]
	s_and_b64 s[18:19], exec, s[18:19]
	s_or_b64 s[50:51], s[18:19], s[50:51]
	s_andn2_b64 exec, exec, s[50:51]
	s_cbranch_execz .LBB0_278
.LBB0_272:                              ;   Parent Loop BB0_27 Depth=1
                                        ;     Parent Loop BB0_220 Depth=2
                                        ;       Parent Loop BB0_264 Depth=3
                                        ; =>      This Inner Loop Header: Depth=4
	global_load_dwordx4 v[16:19], v[24:25], off glc slc
	s_add_i32 s54, s54, 1
	s_cmpk_lg_i32 s54, 0x2710
	s_cbranch_scc1 .LBB0_276
; %bb.273:                              ;   in Loop: Header=BB0_272 Depth=4
	s_trap 2
	ds_read_b64 v[22:23], v0
	s_waitcnt vmcnt(0) lgkmcnt(0)
	flat_load_dword v1, v[22:23] glc
	s_waitcnt vmcnt(0) lgkmcnt(0)
	buffer_invl2
	buffer_wbinvl1_vol
	v_cmp_ne_u32_e32 vcc, 0, v1
	s_and_saveexec_b64 s[18:19], vcc
	s_cbranch_execz .LBB0_275
; %bb.274:                              ;   in Loop: Header=BB0_272 Depth=4
	v_mov_b32_e32 v40, 1
	ds_write_b32 v0, v1
	s_trap 2
.LBB0_275:                              ;   in Loop: Header=BB0_272 Depth=4
	s_or_b64 exec, exec, s[18:19]
	s_mov_b32 s54, 0
	v_mov_b32_e32 v1, v40
	v_cmp_eq_u32_e32 vcc, 0, v1
	s_mov_b64 s[18:19], -1
	s_and_saveexec_b64 s[52:53], vcc
	s_cbranch_execz .LBB0_271
	s_branch .LBB0_277
.LBB0_276:                              ;   in Loop: Header=BB0_272 Depth=4
	v_mov_b32_e32 v1, 0
	v_cmp_eq_u32_e32 vcc, 0, v1
	s_mov_b64 s[18:19], -1
	s_and_saveexec_b64 s[52:53], vcc
	s_cbranch_execz .LBB0_271
.LBB0_277:                              ;   in Loop: Header=BB0_272 Depth=4
	s_waitcnt vmcnt(0)
	v_cmp_eq_u32_e32 vcc, v49, v17
	v_cmp_eq_u32_e64 s[18:19], v49, v19
	s_and_b64 s[18:19], vcc, s[18:19]
	s_orn2_b64 s[18:19], s[18:19], exec
	s_branch .LBB0_271
.LBB0_278:                              ;   in Loop: Header=BB0_264 Depth=3
	s_or_b64 exec, exec, s[50:51]
.LBB0_279:                              ;   in Loop: Header=BB0_264 Depth=3
	s_or_b64 exec, exec, s[48:49]
.LBB0_280:                              ;   in Loop: Header=BB0_264 Depth=3
	s_or_b64 exec, exec, s[46:47]
	v_lshlrev_b32_e32 v31, 3, v10
	s_waitcnt vmcnt(1)
	v_alignbit_b32 v42, v27, v2, v31
	v_cmp_ne_u16_sdwa vcc, v42, v43 src0_sel:BYTE_0 src1_sel:DWORD
	v_mov_b32_e32 v1, 0
	s_and_saveexec_b64 s[18:19], vcc
	s_cbranch_execz .LBB0_286
; %bb.281:                              ;   in Loop: Header=BB0_264 Depth=3
	v_cmp_ne_u16_sdwa vcc, v42, s61 src0_sel:BYTE_0 src1_sel:DWORD
	v_bfrev_b32_e32 v1, 1
	s_and_saveexec_b64 s[46:47], vcc
	s_cbranch_execz .LBB0_285
; %bb.282:                              ;   in Loop: Header=BB0_264 Depth=3
	v_and_b32_e32 v2, 0x7f, v42
	v_cmp_ne_u32_e32 vcc, s62, v2
	v_mov_b32_e32 v1, 0x7f800001
	s_and_saveexec_b64 s[48:49], vcc
	s_cbranch_execz .LBB0_284
; %bb.283:                              ;   in Loop: Header=BB0_264 Depth=3
	v_and_b32_e32 v1, 7, v42
	v_ffbh_u32_e32 v1, v1
	v_min_u32_e32 v1, 32, v1
	v_subrev_u32_e32 v23, 28, v1
	v_cmp_gt_u32_e32 vcc, 8, v2
	v_lshrrev_b32_e32 v22, 3, v2
	v_sub_u32_e32 v1, 29, v1
	v_cndmask_b32_e32 v2, 0, v23, vcc
	v_cndmask_b32_e32 v1, v22, v1, vcc
	v_lshlrev_b64 v[22:23], v2, v[42:43]
	v_lshlrev_b32_e32 v2, 20, v22
	v_lshlrev_b32_e32 v22, 24, v42
	v_and_b32_e32 v2, 0x700000, v2
	v_and_b32_e32 v22, 0x80000000, v22
	v_lshl_add_u32 v1, v1, 23, v47
	v_or3_b32 v1, v22, v1, v2
.LBB0_284:                              ;   in Loop: Header=BB0_264 Depth=3
	s_or_b64 exec, exec, s[48:49]
.LBB0_285:                              ;   in Loop: Header=BB0_264 Depth=3
	s_or_b64 exec, exec, s[46:47]
.LBB0_286:                              ;   in Loop: Header=BB0_264 Depth=3
	s_or_b64 exec, exec, s[18:19]
	v_mul_f32_e32 v33, v62, v1
	v_and_b32_sdwa v2, v33, s61 dst_sel:DWORD dst_unused:UNUSED_PAD src0_sel:BYTE_3 src1_sel:DWORD
	v_and_b32_e32 v22, 0x7f800000, v33
	v_mov_b32_e32 v23, v43
	v_and_b32_e32 v24, 0x7fffff, v33
	v_mov_b32_e32 v25, v43
	v_or_b32_e32 v1, 0x7e, v2
	v_cmp_ne_u64_e32 vcc, s[36:37], v[22:23]
	s_and_saveexec_b64 s[18:19], vcc
	s_xor_b64 s[46:47], exec, s[18:19]
	s_cbranch_execz .LBB0_296
; %bb.287:                              ;   in Loop: Header=BB0_264 Depth=3
	v_and_b32_e32 v22, 0x7fffffff, v33
	v_mov_b32_e32 v23, v43
	v_cmp_gt_u64_e32 vcc, s[38:39], v[22:23]
	s_and_saveexec_b64 s[48:49], vcc
	s_cbranch_execz .LBB0_295
; %bb.288:                              ;   in Loop: Header=BB0_264 Depth=3
	v_cmp_ne_u32_e32 vcc, 0, v33
	v_mov_b32_e32 v1, 0
	s_and_saveexec_b64 s[50:51], vcc
	s_cbranch_execz .LBB0_294
; %bb.289:                              ;   in Loop: Header=BB0_264 Depth=3
	v_bfe_u32 v1, v33, 23, 8
	v_sub_u32_e32 v23, 0x79, v1
	v_cmp_gt_u32_e32 vcc, s63, v1
	v_cndmask_b32_e32 v23, 0, v23, vcc
	v_cmp_eq_u32_e32 vcc, 0, v1
	v_add_u32_e32 v22, 0xffffff81, v1
	v_cndmask_b32_e32 v36, v23, v6, vcc
	v_cndmask_b32_e32 v1, v22, v30, vcc
	v_add_u32_e32 v22, 20, v36
	v_or_b32_e32 v33, 0x800000, v24
	v_lshlrev_b64 v[22:23], v22, -1
	v_cndmask_b32_e32 v24, v33, v24, vcc
	v_not_b32_e32 v22, v22
	v_and_b32_e32 v22, v24, v22
	v_add_u32_e32 v33, 19, v36
	v_lshrrev_b64 v[24:25], v36, v[24:25]
	v_not_b32_e32 v23, v23
	v_lshlrev_b64 v[60:61], v33, 1
	v_lshrrev_b32_e32 v33, 23, v24
	v_and_b32_e32 v23, 0, v23
	v_add3_u32 v44, v36, v1, v33
	v_bfe_u32 v1, v24, 20, 1
	v_add_u32_e32 v1, -1, v1
	v_cmp_eq_u64_e32 vcc, v[22:23], v[60:61]
	v_cndmask_b32_e32 v1, 0, v1, vcc
	v_add_u32_e32 v1, v1, v24
	v_and_b32_e32 v1, 0xfffff, v1
	v_add_co_u32_e32 v24, vcc, v1, v24
	v_add_u32_e32 v33, 6, v44
	v_addc_co_u32_e32 v25, vcc, 0, v25, vcc
	v_cmp_ne_u32_e32 vcc, 0, v33
                                        ; implicit-def: $vgpr1
	s_and_saveexec_b64 s[18:19], vcc
	s_xor_b64 s[18:19], exec, s[18:19]
; %bb.290:                              ;   in Loop: Header=BB0_264 Depth=3
	v_cmp_lt_u64_e32 vcc, s[40:41], v[24:25]
	v_add_u32_e32 v1, 7, v44
	v_cndmask_b32_e64 v22, 0, 1, vcc
	v_cndmask_b32_e32 v1, v33, v1, vcc
	v_lshrrev_b64 v[24:25], v22, v[24:25]
; %bb.291:                              ;   in Loop: Header=BB0_264 Depth=3
	s_andn2_saveexec_b64 s[18:19], s[18:19]
; %bb.292:                              ;   in Loop: Header=BB0_264 Depth=3
	v_bfe_u32 v1, v24, 23, 1
; %bb.293:                              ;   in Loop: Header=BB0_264 Depth=3
	s_or_b64 exec, exec, s[18:19]
	v_lshrrev_b64 v[22:23], 20, v[24:25]
	v_cmp_gt_i32_e32 vcc, 16, v1
	v_cndmask_b32_e32 v23, 0, v23, vcc
	v_cndmask_b32_e32 v22, 7, v22, vcc
	v_cmp_eq_u32_e32 vcc, 0, v1
	v_min_i32_e32 v1, 15, v1
	v_cmp_eq_u64_e64 s[18:19], 0, v[22:23]
	v_lshlrev_b32_e32 v1, 3, v1
	v_and_or_b32 v1, v22, 7, v1
	s_and_b64 s[18:19], vcc, s[18:19]
	v_cndmask_b32_e64 v1, v1, 0, s[18:19]
	v_or_b32_e32 v1, v1, v2
.LBB0_294:                              ;   in Loop: Header=BB0_264 Depth=3
	s_or_b64 exec, exec, s[50:51]
.LBB0_295:                              ;   in Loop: Header=BB0_264 Depth=3
	s_or_b64 exec, exec, s[48:49]
                                        ; implicit-def: $vgpr33
                                        ; implicit-def: $vgpr24_vgpr25
.LBB0_296:                              ;   in Loop: Header=BB0_264 Depth=3
	s_andn2_saveexec_b64 s[18:19], s[46:47]
; %bb.297:                              ;   in Loop: Header=BB0_264 Depth=3
	v_or_b32_sdwa v2, v33, s62 dst_sel:DWORD dst_unused:UNUSED_PAD src0_sel:BYTE_3 src1_sel:DWORD
	v_cmp_eq_u64_e32 vcc, 0, v[24:25]
	v_cndmask_b32_e32 v1, v2, v1, vcc
; %bb.298:                              ;   in Loop: Header=BB0_264 Depth=3
	s_or_b64 exec, exec, s[18:19]
	v_lshrrev_b16_e32 v2, 8, v42
	v_cmp_ne_u16_e32 vcc, 0, v2
	v_mov_b32_e32 v24, 0
	s_and_saveexec_b64 s[18:19], vcc
	s_cbranch_execz .LBB0_304
; %bb.299:                              ;   in Loop: Header=BB0_264 Depth=3
	v_cmp_ne_u16_e32 vcc, s61, v2
	v_bfrev_b32_e32 v24, 1
	s_and_saveexec_b64 s[46:47], vcc
	s_cbranch_execz .LBB0_303
; %bb.300:                              ;   in Loop: Header=BB0_264 Depth=3
	v_and_b32_e32 v22, 0x7f, v2
	v_cmp_ne_u32_e32 vcc, s62, v22
	v_mov_b32_e32 v24, 0x7f800001
	s_and_saveexec_b64 s[48:49], vcc
	s_cbranch_execz .LBB0_302
; %bb.301:                              ;   in Loop: Header=BB0_264 Depth=3
	v_and_b32_e32 v23, 7, v2
	v_ffbh_u32_e32 v24, v23
	v_min_u32_e32 v36, 32, v24
	v_subrev_u32_e32 v24, 28, v36
	v_lshlrev_b64 v[24:25], v24, v[2:3]
	v_lshrrev_b32_e32 v33, 3, v22
	v_sub_u32_e32 v2, 29, v36
	v_and_b32_e32 v24, 7, v24
	v_cmp_gt_u32_e32 vcc, 8, v22
	v_cndmask_b32_e32 v2, v33, v2, vcc
	v_cndmask_b32_e32 v22, v23, v24, vcc
	v_lshlrev_b32_e32 v23, 16, v42
	v_lshlrev_b32_e32 v22, 20, v22
	v_and_b32_e32 v23, 0x80000000, v23
	v_lshl_add_u32 v2, v2, 23, v47
	v_or3_b32 v24, v23, v2, v22
.LBB0_302:                              ;   in Loop: Header=BB0_264 Depth=3
	s_or_b64 exec, exec, s[48:49]
.LBB0_303:                              ;   in Loop: Header=BB0_264 Depth=3
	s_or_b64 exec, exec, s[46:47]
.LBB0_304:                              ;   in Loop: Header=BB0_264 Depth=3
	s_or_b64 exec, exec, s[18:19]
	v_mul_f32_e32 v33, v62, v24
	v_and_b32_sdwa v2, v33, s61 dst_sel:DWORD dst_unused:UNUSED_PAD src0_sel:BYTE_3 src1_sel:DWORD
	v_and_b32_e32 v22, 0x7f800000, v33
	v_mov_b32_e32 v23, v43
	v_and_b32_e32 v24, 0x7fffff, v33
	v_mov_b32_e32 v25, v43
	v_or_b32_e32 v61, 0x7e, v2
	v_cmp_ne_u64_e32 vcc, s[36:37], v[22:23]
	s_and_saveexec_b64 s[18:19], vcc
	s_xor_b64 s[46:47], exec, s[18:19]
	s_cbranch_execz .LBB0_314
; %bb.305:                              ;   in Loop: Header=BB0_264 Depth=3
	v_and_b32_e32 v22, 0x7fffffff, v33
	v_mov_b32_e32 v23, v43
	v_cmp_gt_u64_e32 vcc, s[38:39], v[22:23]
	s_and_saveexec_b64 s[48:49], vcc
	s_cbranch_execz .LBB0_313
; %bb.306:                              ;   in Loop: Header=BB0_264 Depth=3
	v_cmp_ne_u32_e32 vcc, 0, v33
	v_mov_b32_e32 v61, 0
	s_and_saveexec_b64 s[50:51], vcc
	s_cbranch_execz .LBB0_312
; %bb.307:                              ;   in Loop: Header=BB0_264 Depth=3
	v_bfe_u32 v22, v33, 23, 8
	v_sub_u32_e32 v33, 0x79, v22
	v_cmp_gt_u32_e32 vcc, s63, v22
	v_cndmask_b32_e32 v33, 0, v33, vcc
	v_cmp_eq_u32_e32 vcc, 0, v22
	v_cndmask_b32_e32 v33, v33, v6, vcc
	v_add_u32_e32 v23, 0xffffff81, v22
	v_add_u32_e32 v22, 20, v33
	v_or_b32_e32 v36, 0x800000, v24
	v_cndmask_b32_e32 v50, v23, v30, vcc
	v_lshlrev_b64 v[22:23], v22, -1
	v_cndmask_b32_e32 v24, v36, v24, vcc
	v_not_b32_e32 v22, v22
	v_and_b32_e32 v22, v24, v22
	v_lshrrev_b64 v[24:25], v33, v[24:25]
	v_not_b32_e32 v23, v23
	v_add_u32_e32 v36, 19, v33
	v_lshrrev_b32_e32 v51, 23, v24
	v_and_b32_e32 v23, 0, v23
	v_lshlrev_b64 v[36:37], v36, 1
	v_add3_u32 v60, v33, v50, v51
	v_bfe_u32 v33, v24, 20, 1
	v_add_u32_e32 v33, -1, v33
	v_cmp_eq_u64_e32 vcc, v[22:23], v[36:37]
	v_cndmask_b32_e32 v22, 0, v33, vcc
	v_add_u32_e32 v22, v22, v24
	v_and_b32_e32 v22, 0xfffff, v22
	v_add_co_u32_e32 v24, vcc, v22, v24
	v_add_u32_e32 v44, 6, v60
	v_addc_co_u32_e32 v25, vcc, 0, v25, vcc
	v_cmp_ne_u32_e32 vcc, 0, v44
                                        ; implicit-def: $vgpr33
	s_and_saveexec_b64 s[18:19], vcc
	s_xor_b64 s[18:19], exec, s[18:19]
; %bb.308:                              ;   in Loop: Header=BB0_264 Depth=3
	v_add_u32_e32 v22, 7, v60
	v_cmp_lt_u64_e32 vcc, s[40:41], v[24:25]
	v_cndmask_b32_e32 v33, v44, v22, vcc
	v_cndmask_b32_e64 v22, 0, 1, vcc
	v_lshrrev_b64 v[24:25], v22, v[24:25]
; %bb.309:                              ;   in Loop: Header=BB0_264 Depth=3
	s_andn2_saveexec_b64 s[18:19], s[18:19]
; %bb.310:                              ;   in Loop: Header=BB0_264 Depth=3
	v_bfe_u32 v33, v24, 23, 1
; %bb.311:                              ;   in Loop: Header=BB0_264 Depth=3
	s_or_b64 exec, exec, s[18:19]
	v_lshrrev_b64 v[22:23], 20, v[24:25]
	v_cmp_gt_i32_e32 vcc, 16, v33
	v_cndmask_b32_e32 v23, 0, v23, vcc
	v_cndmask_b32_e32 v22, 7, v22, vcc
	v_cmp_eq_u64_e64 s[18:19], 0, v[22:23]
	v_min_i32_e32 v23, 15, v33
	v_cmp_eq_u32_e32 vcc, 0, v33
	v_lshlrev_b32_e32 v23, 3, v23
	v_and_or_b32 v22, v22, 7, v23
	s_and_b64 s[18:19], vcc, s[18:19]
	v_cndmask_b32_e64 v22, v22, 0, s[18:19]
	v_or_b32_e32 v61, v22, v2
.LBB0_312:                              ;   in Loop: Header=BB0_264 Depth=3
	s_or_b64 exec, exec, s[50:51]
.LBB0_313:                              ;   in Loop: Header=BB0_264 Depth=3
	s_or_b64 exec, exec, s[48:49]
                                        ; implicit-def: $vgpr33
                                        ; implicit-def: $vgpr24_vgpr25
.LBB0_314:                              ;   in Loop: Header=BB0_264 Depth=3
	s_andn2_saveexec_b64 s[18:19], s[46:47]
; %bb.315:                              ;   in Loop: Header=BB0_264 Depth=3
	v_or_b32_sdwa v2, v33, s62 dst_sel:DWORD dst_unused:UNUSED_PAD src0_sel:BYTE_3 src1_sel:DWORD
	v_cmp_eq_u64_e32 vcc, 0, v[24:25]
	v_cndmask_b32_e32 v61, v2, v61, vcc
; %bb.316:                              ;   in Loop: Header=BB0_264 Depth=3
	s_or_b64 exec, exec, s[18:19]
	v_and_b32_sdwa v22, v42, s60 dst_sel:DWORD dst_unused:UNUSED_PAD src0_sel:WORD_1 src1_sel:DWORD
	v_lshrrev_b32_e32 v2, 16, v42
	v_cmp_ne_u16_e32 vcc, 0, v22
	v_mov_b32_e32 v24, 0
	s_and_saveexec_b64 s[18:19], vcc
	s_cbranch_execz .LBB0_322
; %bb.317:                              ;   in Loop: Header=BB0_264 Depth=3
	v_cmp_ne_u16_e32 vcc, s61, v22
	v_bfrev_b32_e32 v24, 1
	s_and_saveexec_b64 s[46:47], vcc
	s_cbranch_execz .LBB0_321
; %bb.318:                              ;   in Loop: Header=BB0_264 Depth=3
	v_bfe_u32 v22, v42, 16, 7
	v_cmp_ne_u32_e32 vcc, s62, v22
	v_mov_b32_e32 v24, 0x7f800001
	s_and_saveexec_b64 s[48:49], vcc
	s_cbranch_execz .LBB0_320
; %bb.319:                              ;   in Loop: Header=BB0_264 Depth=3
	v_and_b32_e32 v23, 7, v2
	v_ffbh_u32_e32 v24, v23
	v_min_u32_e32 v36, 32, v24
	v_subrev_u32_e32 v24, 28, v36
	v_lshlrev_b64 v[24:25], v24, v[2:3]
	v_lshrrev_b32_e32 v33, 3, v22
	v_sub_u32_e32 v2, 29, v36
	v_and_b32_e32 v24, 7, v24
	v_cmp_gt_u32_e32 vcc, 8, v22
	v_cndmask_b32_e32 v2, v33, v2, vcc
	v_cndmask_b32_e32 v22, v23, v24, vcc
	v_lshlrev_b32_sdwa v23, v7, v42 dst_sel:DWORD dst_unused:UNUSED_PAD src0_sel:DWORD src1_sel:WORD_1
	v_lshlrev_b32_e32 v22, 20, v22
	v_and_b32_e32 v23, 0x80000000, v23
	v_lshl_add_u32 v2, v2, 23, v47
	v_or3_b32 v24, v23, v2, v22
.LBB0_320:                              ;   in Loop: Header=BB0_264 Depth=3
	s_or_b64 exec, exec, s[48:49]
.LBB0_321:                              ;   in Loop: Header=BB0_264 Depth=3
	s_or_b64 exec, exec, s[46:47]
.LBB0_322:                              ;   in Loop: Header=BB0_264 Depth=3
	s_or_b64 exec, exec, s[18:19]
	v_mul_f32_e32 v44, v62, v24
	v_and_b32_sdwa v33, v44, s61 dst_sel:DWORD dst_unused:UNUSED_PAD src0_sel:BYTE_3 src1_sel:DWORD
	v_and_b32_e32 v22, 0x7f800000, v44
	v_mov_b32_e32 v23, v43
	v_and_b32_e32 v24, 0x7fffff, v44
	v_mov_b32_e32 v25, v43
	v_or_b32_e32 v2, 0x7e, v33
	v_cmp_ne_u64_e32 vcc, s[36:37], v[22:23]
	s_and_saveexec_b64 s[18:19], vcc
	s_xor_b64 s[46:47], exec, s[18:19]
	s_cbranch_execz .LBB0_332
; %bb.323:                              ;   in Loop: Header=BB0_264 Depth=3
	v_and_b32_e32 v22, 0x7fffffff, v44
	v_mov_b32_e32 v23, v43
	v_cmp_gt_u64_e32 vcc, s[38:39], v[22:23]
	s_and_saveexec_b64 s[48:49], vcc
	s_cbranch_execz .LBB0_331
; %bb.324:                              ;   in Loop: Header=BB0_264 Depth=3
	v_cmp_ne_u32_e32 vcc, 0, v44
	v_mov_b32_e32 v2, 0
	s_and_saveexec_b64 s[50:51], vcc
	s_cbranch_execz .LBB0_330
; %bb.325:                              ;   in Loop: Header=BB0_264 Depth=3
	v_bfe_u32 v2, v44, 23, 8
	v_sub_u32_e32 v23, 0x79, v2
	v_cmp_gt_u32_e32 vcc, s63, v2
	v_cndmask_b32_e32 v23, 0, v23, vcc
	v_cmp_eq_u32_e32 vcc, 0, v2
	v_add_u32_e32 v22, 0xffffff81, v2
	v_cndmask_b32_e32 v50, v23, v6, vcc
	v_cndmask_b32_e32 v2, v22, v30, vcc
	v_add_u32_e32 v22, 20, v50
	v_or_b32_e32 v36, 0x800000, v24
	v_lshlrev_b64 v[22:23], v22, -1
	v_cndmask_b32_e32 v24, v36, v24, vcc
	v_not_b32_e32 v22, v22
	v_and_b32_e32 v22, v24, v22
	v_lshrrev_b64 v[24:25], v50, v[24:25]
	v_not_b32_e32 v23, v23
	v_add_u32_e32 v36, 19, v50
	v_lshrrev_b32_e32 v51, 23, v24
	v_and_b32_e32 v23, 0, v23
	v_lshlrev_b64 v[36:37], v36, 1
	v_add3_u32 v60, v50, v2, v51
	v_bfe_u32 v2, v24, 20, 1
	v_add_u32_e32 v2, -1, v2
	v_cmp_eq_u64_e32 vcc, v[22:23], v[36:37]
	v_cndmask_b32_e32 v2, 0, v2, vcc
	v_add_u32_e32 v2, v2, v24
	v_and_b32_e32 v2, 0xfffff, v2
	v_add_co_u32_e32 v24, vcc, v2, v24
	v_add_u32_e32 v44, 6, v60
	v_addc_co_u32_e32 v25, vcc, 0, v25, vcc
	v_cmp_ne_u32_e32 vcc, 0, v44
                                        ; implicit-def: $vgpr2
	s_and_saveexec_b64 s[18:19], vcc
	s_xor_b64 s[18:19], exec, s[18:19]
; %bb.326:                              ;   in Loop: Header=BB0_264 Depth=3
	v_cmp_lt_u64_e32 vcc, s[40:41], v[24:25]
	v_add_u32_e32 v2, 7, v60
	v_cndmask_b32_e64 v22, 0, 1, vcc
	v_cndmask_b32_e32 v2, v44, v2, vcc
	v_lshrrev_b64 v[24:25], v22, v[24:25]
; %bb.327:                              ;   in Loop: Header=BB0_264 Depth=3
	s_andn2_saveexec_b64 s[18:19], s[18:19]
; %bb.328:                              ;   in Loop: Header=BB0_264 Depth=3
	v_bfe_u32 v2, v24, 23, 1
; %bb.329:                              ;   in Loop: Header=BB0_264 Depth=3
	s_or_b64 exec, exec, s[18:19]
	v_lshrrev_b64 v[22:23], 20, v[24:25]
	v_cmp_gt_i32_e32 vcc, 16, v2
	v_cndmask_b32_e32 v23, 0, v23, vcc
	v_cndmask_b32_e32 v22, 7, v22, vcc
	v_cmp_eq_u32_e32 vcc, 0, v2
	v_min_i32_e32 v2, 15, v2
	v_cmp_eq_u64_e64 s[18:19], 0, v[22:23]
	v_lshlrev_b32_e32 v2, 3, v2
	v_and_or_b32 v2, v22, 7, v2
	s_and_b64 s[18:19], vcc, s[18:19]
	v_cndmask_b32_e64 v2, v2, 0, s[18:19]
	v_or_b32_e32 v2, v2, v33
.LBB0_330:                              ;   in Loop: Header=BB0_264 Depth=3
	s_or_b64 exec, exec, s[50:51]
.LBB0_331:                              ;   in Loop: Header=BB0_264 Depth=3
	s_or_b64 exec, exec, s[48:49]
                                        ; implicit-def: $vgpr44
                                        ; implicit-def: $vgpr24_vgpr25
.LBB0_332:                              ;   in Loop: Header=BB0_264 Depth=3
	s_andn2_saveexec_b64 s[18:19], s[46:47]
; %bb.333:                              ;   in Loop: Header=BB0_264 Depth=3
	v_or_b32_sdwa v22, v44, s62 dst_sel:DWORD dst_unused:UNUSED_PAD src0_sel:BYTE_3 src1_sel:DWORD
	v_cmp_eq_u64_e32 vcc, 0, v[24:25]
	v_cndmask_b32_e32 v2, v22, v2, vcc
; %bb.334:                              ;   in Loop: Header=BB0_264 Depth=3
	s_or_b64 exec, exec, s[18:19]
	v_cmp_lt_u32_e32 vcc, s64, v42
	v_mov_b32_e32 v25, 0
	s_and_saveexec_b64 s[18:19], vcc
	s_cbranch_execz .LBB0_340
; %bb.335:                              ;   in Loop: Header=BB0_264 Depth=3
	v_lshrrev_b32_e32 v24, 24, v42
	v_cmp_ne_u32_sdwa vcc, v42, s61 src0_sel:BYTE_3 src1_sel:DWORD
	v_bfrev_b32_e32 v25, 1
	s_and_saveexec_b64 s[46:47], vcc
	s_cbranch_execz .LBB0_339
; %bb.336:                              ;   in Loop: Header=BB0_264 Depth=3
	v_bfe_u32 v22, v42, 24, 7
	v_cmp_ne_u32_e32 vcc, s62, v22
	v_mov_b32_e32 v25, 0x7f800001
	s_and_saveexec_b64 s[48:49], vcc
	s_cbranch_execz .LBB0_338
; %bb.337:                              ;   in Loop: Header=BB0_264 Depth=3
	v_and_b32_e32 v23, 7, v24
	v_ffbh_u32_e32 v25, v23
	v_min_u32_e32 v36, 32, v25
	v_subrev_u32_e32 v25, 28, v36
	v_lshlrev_b64 v[24:25], v25, v[24:25]
	v_lshrrev_b32_e32 v33, 3, v22
	v_sub_u32_e32 v25, 29, v36
	v_and_b32_e32 v24, 7, v24
	v_cmp_gt_u32_e32 vcc, 8, v22
	v_cndmask_b32_e32 v22, v33, v25, vcc
	v_cndmask_b32_e32 v23, v23, v24, vcc
	v_lshlrev_b32_sdwa v24, v7, v42 dst_sel:DWORD dst_unused:UNUSED_PAD src0_sel:DWORD src1_sel:BYTE_3
	v_lshlrev_b32_e32 v23, 20, v23
	v_and_b32_e32 v24, 0x80000000, v24
	v_lshl_add_u32 v22, v22, 23, v47
	v_or3_b32 v25, v24, v22, v23
.LBB0_338:                              ;   in Loop: Header=BB0_264 Depth=3
	s_or_b64 exec, exec, s[48:49]
.LBB0_339:                              ;   in Loop: Header=BB0_264 Depth=3
	s_or_b64 exec, exec, s[46:47]
.LBB0_340:                              ;   in Loop: Header=BB0_264 Depth=3
	s_or_b64 exec, exec, s[18:19]
	v_mul_f32_e32 v24, v62, v25
	v_and_b32_sdwa v33, v24, s61 dst_sel:DWORD dst_unused:UNUSED_PAD src0_sel:BYTE_3 src1_sel:DWORD
	v_and_b32_e32 v22, 0x7f800000, v24
	v_mov_b32_e32 v23, v43
	v_and_b32_e32 v42, 0x7fffff, v24
	v_or_b32_e32 v60, 0x7e, v33
	v_cmp_ne_u64_e32 vcc, s[36:37], v[22:23]
	s_and_saveexec_b64 s[18:19], vcc
	s_xor_b64 s[46:47], exec, s[18:19]
	s_cbranch_execz .LBB0_350
; %bb.341:                              ;   in Loop: Header=BB0_264 Depth=3
	v_and_b32_e32 v22, 0x7fffffff, v24
	v_mov_b32_e32 v23, v43
	v_cmp_gt_u64_e32 vcc, s[38:39], v[22:23]
	s_and_saveexec_b64 s[48:49], vcc
	s_cbranch_execz .LBB0_349
; %bb.342:                              ;   in Loop: Header=BB0_264 Depth=3
	v_cmp_ne_u32_e32 vcc, 0, v24
	v_mov_b32_e32 v60, 0
	s_and_saveexec_b64 s[50:51], vcc
	s_cbranch_execz .LBB0_348
; %bb.343:                              ;   in Loop: Header=BB0_264 Depth=3
	v_bfe_u32 v22, v24, 23, 8
	v_sub_u32_e32 v24, 0x79, v22
	v_cmp_gt_u32_e32 vcc, s63, v22
	v_cndmask_b32_e32 v24, 0, v24, vcc
	v_cmp_eq_u32_e32 vcc, 0, v22
	v_cndmask_b32_e32 v51, v24, v6, vcc
	v_add_u32_e32 v23, 0xffffff81, v22
	v_or_b32_e32 v25, 0x800000, v42
	v_add_u32_e32 v22, 20, v51
	v_cndmask_b32_e32 v50, v23, v30, vcc
	v_cndmask_b32_e32 v42, v25, v42, vcc
	v_lshlrev_b64 v[22:23], v22, -1
	v_not_b32_e32 v22, v22
	v_lshrrev_b64 v[36:37], v51, v[42:43]
	v_not_b32_e32 v23, v23
	v_and_b32_e32 v22, v42, v22
	v_add_u32_e32 v24, 19, v51
	v_lshrrev_b32_e32 v42, 23, v36
	v_and_b32_e32 v23, 0, v23
	v_lshlrev_b64 v[24:25], v24, 1
	v_add3_u32 v60, v51, v50, v42
	v_bfe_u32 v50, v36, 20, 1
	v_add_u32_e32 v50, -1, v50
	v_cmp_eq_u64_e32 vcc, v[22:23], v[24:25]
	v_cndmask_b32_e32 v22, 0, v50, vcc
	v_add_u32_e32 v22, v22, v36
	v_and_b32_e32 v22, 0xfffff, v22
	v_add_co_u32_e32 v24, vcc, v22, v36
	v_add_u32_e32 v44, 6, v60
	v_addc_co_u32_e32 v25, vcc, 0, v37, vcc
	v_cmp_ne_u32_e32 vcc, 0, v44
                                        ; implicit-def: $vgpr42
	s_and_saveexec_b64 s[18:19], vcc
	s_xor_b64 s[18:19], exec, s[18:19]
; %bb.344:                              ;   in Loop: Header=BB0_264 Depth=3
	v_add_u32_e32 v22, 7, v60
	v_cmp_lt_u64_e32 vcc, s[40:41], v[24:25]
	v_cndmask_b32_e32 v42, v44, v22, vcc
	v_cndmask_b32_e64 v22, 0, 1, vcc
	v_lshrrev_b64 v[24:25], v22, v[24:25]
; %bb.345:                              ;   in Loop: Header=BB0_264 Depth=3
	s_andn2_saveexec_b64 s[18:19], s[18:19]
; %bb.346:                              ;   in Loop: Header=BB0_264 Depth=3
	v_bfe_u32 v42, v24, 23, 1
; %bb.347:                              ;   in Loop: Header=BB0_264 Depth=3
	s_or_b64 exec, exec, s[18:19]
	v_lshrrev_b64 v[22:23], 20, v[24:25]
	v_cmp_gt_i32_e32 vcc, 16, v42
	v_cndmask_b32_e32 v23, 0, v23, vcc
	v_cndmask_b32_e32 v22, 7, v22, vcc
	v_cmp_eq_u64_e64 s[18:19], 0, v[22:23]
	v_min_i32_e32 v23, 15, v42
	v_cmp_eq_u32_e32 vcc, 0, v42
	v_lshlrev_b32_e32 v23, 3, v23
	v_and_or_b32 v22, v22, 7, v23
	s_and_b64 s[18:19], vcc, s[18:19]
	v_cndmask_b32_e64 v22, v22, 0, s[18:19]
	v_or_b32_e32 v60, v22, v33
.LBB0_348:                              ;   in Loop: Header=BB0_264 Depth=3
	s_or_b64 exec, exec, s[50:51]
.LBB0_349:                              ;   in Loop: Header=BB0_264 Depth=3
	s_or_b64 exec, exec, s[48:49]
                                        ; implicit-def: $vgpr24
.LBB0_350:                              ;   in Loop: Header=BB0_264 Depth=3
	s_andn2_saveexec_b64 s[18:19], s[46:47]
; %bb.351:                              ;   in Loop: Header=BB0_264 Depth=3
	v_or_b32_sdwa v22, v24, s62 dst_sel:DWORD dst_unused:UNUSED_PAD src0_sel:BYTE_3 src1_sel:DWORD
	v_cmp_eq_u64_e32 vcc, 0, v[42:43]
	v_cndmask_b32_e32 v60, v22, v60, vcc
; %bb.352:                              ;   in Loop: Header=BB0_264 Depth=3
	s_or_b64 exec, exec, s[18:19]
	v_alignbit_b32 v42, v26, v27, v31
	v_cmp_ne_u16_sdwa vcc, v42, v43 src0_sel:BYTE_0 src1_sel:DWORD
	v_mov_b32_e32 v24, 0
	s_and_saveexec_b64 s[18:19], vcc
	s_cbranch_execz .LBB0_358
; %bb.353:                              ;   in Loop: Header=BB0_264 Depth=3
	v_cmp_ne_u16_sdwa vcc, v42, s61 src0_sel:BYTE_0 src1_sel:DWORD
	v_bfrev_b32_e32 v24, 1
	s_and_saveexec_b64 s[46:47], vcc
	s_cbranch_execz .LBB0_357
; %bb.354:                              ;   in Loop: Header=BB0_264 Depth=3
	v_and_b32_e32 v22, 0x7f, v42
	v_cmp_ne_u32_e32 vcc, s62, v22
	v_mov_b32_e32 v24, 0x7f800001
	s_and_saveexec_b64 s[48:49], vcc
	s_cbranch_execz .LBB0_356
; %bb.355:                              ;   in Loop: Header=BB0_264 Depth=3
	v_and_b32_e32 v23, 7, v42
	v_ffbh_u32_e32 v23, v23
	v_min_u32_e32 v23, 32, v23
	v_subrev_u32_e32 v25, 28, v23
	v_cmp_gt_u32_e32 vcc, 8, v22
	v_lshrrev_b32_e32 v24, 3, v22
	v_sub_u32_e32 v23, 29, v23
	v_cndmask_b32_e32 v22, 0, v25, vcc
	v_cndmask_b32_e32 v24, v24, v23, vcc
	v_lshlrev_b64 v[22:23], v22, v[42:43]
	v_lshlrev_b32_e32 v22, 20, v22
	v_lshlrev_b32_e32 v23, 24, v42
	v_and_b32_e32 v22, 0x700000, v22
	v_and_b32_e32 v23, 0x80000000, v23
	v_lshl_add_u32 v24, v24, 23, v47
	v_or3_b32 v24, v23, v24, v22
.LBB0_356:                              ;   in Loop: Header=BB0_264 Depth=3
	s_or_b64 exec, exec, s[48:49]
.LBB0_357:                              ;   in Loop: Header=BB0_264 Depth=3
	s_or_b64 exec, exec, s[46:47]
.LBB0_358:                              ;   in Loop: Header=BB0_264 Depth=3
	s_or_b64 exec, exec, s[18:19]
	v_mul_f32_e32 v27, v62, v24
	v_and_b32_sdwa v26, v27, s61 dst_sel:DWORD dst_unused:UNUSED_PAD src0_sel:BYTE_3 src1_sel:DWORD
	v_and_b32_e32 v22, 0x7f800000, v27
	v_mov_b32_e32 v23, v43
	v_and_b32_e32 v24, 0x7fffff, v27
	v_mov_b32_e32 v25, v43
	v_or_b32_e32 v33, 0x7e, v26
	v_cmp_ne_u64_e32 vcc, s[36:37], v[22:23]
	s_and_saveexec_b64 s[18:19], vcc
	s_xor_b64 s[46:47], exec, s[18:19]
	s_cbranch_execz .LBB0_368
; %bb.359:                              ;   in Loop: Header=BB0_264 Depth=3
	v_and_b32_e32 v22, 0x7fffffff, v27
	v_mov_b32_e32 v23, v43
	v_cmp_gt_u64_e32 vcc, s[38:39], v[22:23]
	s_and_saveexec_b64 s[48:49], vcc
	s_cbranch_execz .LBB0_367
; %bb.360:                              ;   in Loop: Header=BB0_264 Depth=3
	v_cmp_ne_u32_e32 vcc, 0, v27
	v_mov_b32_e32 v33, 0
	s_and_saveexec_b64 s[50:51], vcc
	s_cbranch_execz .LBB0_366
; %bb.361:                              ;   in Loop: Header=BB0_264 Depth=3
	v_bfe_u32 v22, v27, 23, 8
	v_sub_u32_e32 v27, 0x79, v22
	v_cmp_gt_u32_e32 vcc, s63, v22
	v_cndmask_b32_e32 v27, 0, v27, vcc
	v_cmp_eq_u32_e32 vcc, 0, v22
	v_cndmask_b32_e32 v27, v27, v6, vcc
	v_add_u32_e32 v23, 0xffffff81, v22
	v_add_u32_e32 v22, 20, v27
	v_or_b32_e32 v31, 0x800000, v24
	v_cndmask_b32_e32 v33, v23, v30, vcc
	v_lshlrev_b64 v[22:23], v22, -1
	v_cndmask_b32_e32 v24, v31, v24, vcc
	v_not_b32_e32 v22, v22
	v_and_b32_e32 v22, v24, v22
	v_add_u32_e32 v31, 19, v27
	v_lshrrev_b64 v[24:25], v27, v[24:25]
	v_not_b32_e32 v23, v23
	v_lshlrev_b64 v[36:37], v31, 1
	v_lshrrev_b32_e32 v31, 23, v24
	v_and_b32_e32 v23, 0, v23
	v_add3_u32 v33, v27, v33, v31
	v_bfe_u32 v27, v24, 20, 1
	v_add_u32_e32 v27, -1, v27
	v_cmp_eq_u64_e32 vcc, v[22:23], v[36:37]
	v_cndmask_b32_e32 v22, 0, v27, vcc
	v_add_u32_e32 v22, v22, v24
	v_and_b32_e32 v22, 0xfffff, v22
	v_add_co_u32_e32 v24, vcc, v22, v24
	v_add_u32_e32 v31, 6, v33
	v_addc_co_u32_e32 v25, vcc, 0, v25, vcc
	v_cmp_ne_u32_e32 vcc, 0, v31
                                        ; implicit-def: $vgpr27
	s_and_saveexec_b64 s[18:19], vcc
	s_xor_b64 s[18:19], exec, s[18:19]
; %bb.362:                              ;   in Loop: Header=BB0_264 Depth=3
	v_add_u32_e32 v22, 7, v33
	v_cmp_lt_u64_e32 vcc, s[40:41], v[24:25]
	v_cndmask_b32_e32 v27, v31, v22, vcc
	v_cndmask_b32_e64 v22, 0, 1, vcc
	v_lshrrev_b64 v[24:25], v22, v[24:25]
; %bb.363:                              ;   in Loop: Header=BB0_264 Depth=3
	s_andn2_saveexec_b64 s[18:19], s[18:19]
; %bb.364:                              ;   in Loop: Header=BB0_264 Depth=3
	v_bfe_u32 v27, v24, 23, 1
; %bb.365:                              ;   in Loop: Header=BB0_264 Depth=3
	s_or_b64 exec, exec, s[18:19]
	v_lshrrev_b64 v[22:23], 20, v[24:25]
	v_cmp_gt_i32_e32 vcc, 16, v27
	v_cndmask_b32_e32 v23, 0, v23, vcc
	v_cndmask_b32_e32 v22, 7, v22, vcc
	v_cmp_eq_u64_e64 s[18:19], 0, v[22:23]
	v_min_i32_e32 v23, 15, v27
	v_cmp_eq_u32_e32 vcc, 0, v27
	v_lshlrev_b32_e32 v23, 3, v23
	v_and_or_b32 v22, v22, 7, v23
	s_and_b64 s[18:19], vcc, s[18:19]
	v_cndmask_b32_e64 v22, v22, 0, s[18:19]
	v_or_b32_e32 v33, v22, v26
.LBB0_366:                              ;   in Loop: Header=BB0_264 Depth=3
	s_or_b64 exec, exec, s[50:51]
.LBB0_367:                              ;   in Loop: Header=BB0_264 Depth=3
	s_or_b64 exec, exec, s[48:49]
                                        ; implicit-def: $vgpr27
                                        ; implicit-def: $vgpr24_vgpr25
.LBB0_368:                              ;   in Loop: Header=BB0_264 Depth=3
	s_andn2_saveexec_b64 s[18:19], s[46:47]
; %bb.369:                              ;   in Loop: Header=BB0_264 Depth=3
	v_or_b32_sdwa v22, v27, s62 dst_sel:DWORD dst_unused:UNUSED_PAD src0_sel:BYTE_3 src1_sel:DWORD
	v_cmp_eq_u64_e32 vcc, 0, v[24:25]
	v_cndmask_b32_e32 v33, v22, v33, vcc
; %bb.370:                              ;   in Loop: Header=BB0_264 Depth=3
	s_or_b64 exec, exec, s[18:19]
	v_lshrrev_b16_e32 v24, 8, v42
	v_cmp_ne_u16_e32 vcc, 0, v24
	v_mov_b32_e32 v25, 0
	s_and_saveexec_b64 s[18:19], vcc
	s_cbranch_execz .LBB0_376
; %bb.371:                              ;   in Loop: Header=BB0_264 Depth=3
	v_cmp_ne_u16_e32 vcc, s61, v24
	v_bfrev_b32_e32 v25, 1
	s_and_saveexec_b64 s[46:47], vcc
	s_cbranch_execz .LBB0_375
; %bb.372:                              ;   in Loop: Header=BB0_264 Depth=3
	v_and_b32_e32 v22, 0x7f, v24
	v_cmp_ne_u32_e32 vcc, s62, v22
	v_mov_b32_e32 v25, 0x7f800001
	s_and_saveexec_b64 s[48:49], vcc
	s_cbranch_execz .LBB0_374
; %bb.373:                              ;   in Loop: Header=BB0_264 Depth=3
	v_and_b32_e32 v23, 7, v24
	v_ffbh_u32_e32 v25, v23
	v_min_u32_e32 v27, 32, v25
	v_subrev_u32_e32 v25, 28, v27
	v_lshlrev_b64 v[24:25], v25, v[24:25]
	v_lshrrev_b32_e32 v26, 3, v22
	v_sub_u32_e32 v25, 29, v27
	v_and_b32_e32 v24, 7, v24
	v_cmp_gt_u32_e32 vcc, 8, v22
	v_cndmask_b32_e32 v22, v26, v25, vcc
	v_cndmask_b32_e32 v23, v23, v24, vcc
	v_lshlrev_b32_e32 v24, 16, v42
	v_lshlrev_b32_e32 v23, 20, v23
	v_and_b32_e32 v24, 0x80000000, v24
	v_lshl_add_u32 v22, v22, 23, v47
	v_or3_b32 v25, v24, v22, v23
.LBB0_374:                              ;   in Loop: Header=BB0_264 Depth=3
	s_or_b64 exec, exec, s[48:49]
.LBB0_375:                              ;   in Loop: Header=BB0_264 Depth=3
	s_or_b64 exec, exec, s[46:47]
.LBB0_376:                              ;   in Loop: Header=BB0_264 Depth=3
	s_or_b64 exec, exec, s[18:19]
	v_mul_f32_e32 v27, v62, v25
	v_and_b32_sdwa v26, v27, s61 dst_sel:DWORD dst_unused:UNUSED_PAD src0_sel:BYTE_3 src1_sel:DWORD
	v_and_b32_e32 v22, 0x7f800000, v27
	v_mov_b32_e32 v23, v43
	v_and_b32_e32 v24, 0x7fffff, v27
	v_mov_b32_e32 v25, v43
	v_or_b32_e32 v31, 0x7e, v26
	v_cmp_ne_u64_e32 vcc, s[36:37], v[22:23]
	s_and_saveexec_b64 s[18:19], vcc
	s_xor_b64 s[46:47], exec, s[18:19]
	s_cbranch_execz .LBB0_386
; %bb.377:                              ;   in Loop: Header=BB0_264 Depth=3
	v_and_b32_e32 v22, 0x7fffffff, v27
	v_mov_b32_e32 v23, v43
	v_cmp_gt_u64_e32 vcc, s[38:39], v[22:23]
	s_and_saveexec_b64 s[48:49], vcc
	s_cbranch_execz .LBB0_385
; %bb.378:                              ;   in Loop: Header=BB0_264 Depth=3
	v_cmp_ne_u32_e32 vcc, 0, v27
	v_mov_b32_e32 v31, 0
	s_and_saveexec_b64 s[50:51], vcc
	s_cbranch_execz .LBB0_384
; %bb.379:                              ;   in Loop: Header=BB0_264 Depth=3
	v_bfe_u32 v22, v27, 23, 8
	v_sub_u32_e32 v27, 0x79, v22
	v_cmp_gt_u32_e32 vcc, s63, v22
	v_cndmask_b32_e32 v27, 0, v27, vcc
	v_cmp_eq_u32_e32 vcc, 0, v22
	v_cndmask_b32_e32 v27, v27, v6, vcc
	v_add_u32_e32 v23, 0xffffff81, v22
	v_add_u32_e32 v22, 20, v27
	v_or_b32_e32 v31, 0x800000, v24
	v_cndmask_b32_e32 v50, v23, v30, vcc
	v_lshlrev_b64 v[22:23], v22, -1
	v_cndmask_b32_e32 v24, v31, v24, vcc
	v_not_b32_e32 v22, v22
	v_and_b32_e32 v22, v24, v22
	v_add_u32_e32 v31, 19, v27
	v_lshrrev_b64 v[24:25], v27, v[24:25]
	v_not_b32_e32 v23, v23
	v_lshlrev_b64 v[36:37], v31, 1
	v_lshrrev_b32_e32 v31, 23, v24
	v_and_b32_e32 v23, 0, v23
	v_add3_u32 v44, v27, v50, v31
	v_bfe_u32 v27, v24, 20, 1
	v_add_u32_e32 v27, -1, v27
	v_cmp_eq_u64_e32 vcc, v[22:23], v[36:37]
	v_cndmask_b32_e32 v22, 0, v27, vcc
	v_add_u32_e32 v22, v22, v24
	v_and_b32_e32 v22, 0xfffff, v22
	v_add_co_u32_e32 v24, vcc, v22, v24
	v_add_u32_e32 v31, 6, v44
	v_addc_co_u32_e32 v25, vcc, 0, v25, vcc
	v_cmp_ne_u32_e32 vcc, 0, v31
                                        ; implicit-def: $vgpr27
	s_and_saveexec_b64 s[18:19], vcc
	s_xor_b64 s[18:19], exec, s[18:19]
; %bb.380:                              ;   in Loop: Header=BB0_264 Depth=3
	v_add_u32_e32 v22, 7, v44
	v_cmp_lt_u64_e32 vcc, s[40:41], v[24:25]
	v_cndmask_b32_e32 v27, v31, v22, vcc
	v_cndmask_b32_e64 v22, 0, 1, vcc
	v_lshrrev_b64 v[24:25], v22, v[24:25]
; %bb.381:                              ;   in Loop: Header=BB0_264 Depth=3
	s_andn2_saveexec_b64 s[18:19], s[18:19]
; %bb.382:                              ;   in Loop: Header=BB0_264 Depth=3
	v_bfe_u32 v27, v24, 23, 1
; %bb.383:                              ;   in Loop: Header=BB0_264 Depth=3
	s_or_b64 exec, exec, s[18:19]
	v_lshrrev_b64 v[22:23], 20, v[24:25]
	v_cmp_gt_i32_e32 vcc, 16, v27
	v_cndmask_b32_e32 v23, 0, v23, vcc
	v_cndmask_b32_e32 v22, 7, v22, vcc
	v_cmp_eq_u64_e64 s[18:19], 0, v[22:23]
	v_min_i32_e32 v23, 15, v27
	v_lshlrev_b32_e32 v23, 3, v23
	v_cmp_eq_u32_e32 vcc, 0, v27
	v_and_b32_e32 v23, 0xf8, v23
	v_and_or_b32 v22, v22, 7, v23
	s_and_b64 s[18:19], vcc, s[18:19]
	v_cndmask_b32_e64 v22, v22, 0, s[18:19]
	v_or_b32_e32 v31, v22, v26
.LBB0_384:                              ;   in Loop: Header=BB0_264 Depth=3
	s_or_b64 exec, exec, s[50:51]
.LBB0_385:                              ;   in Loop: Header=BB0_264 Depth=3
	s_or_b64 exec, exec, s[48:49]
                                        ; implicit-def: $vgpr27
                                        ; implicit-def: $vgpr24_vgpr25
.LBB0_386:                              ;   in Loop: Header=BB0_264 Depth=3
	s_andn2_saveexec_b64 s[18:19], s[46:47]
; %bb.387:                              ;   in Loop: Header=BB0_264 Depth=3
	v_or_b32_sdwa v22, v27, s62 dst_sel:DWORD dst_unused:UNUSED_PAD src0_sel:BYTE_3 src1_sel:DWORD
	v_cmp_eq_u64_e32 vcc, 0, v[24:25]
	v_cndmask_b32_e32 v31, v22, v31, vcc
; %bb.388:                              ;   in Loop: Header=BB0_264 Depth=3
	s_or_b64 exec, exec, s[18:19]
	v_and_b32_sdwa v22, v42, s60 dst_sel:DWORD dst_unused:UNUSED_PAD src0_sel:WORD_1 src1_sel:DWORD
	v_lshrrev_b32_e32 v24, 16, v42
	v_cmp_ne_u16_e32 vcc, 0, v22
	v_mov_b32_e32 v25, 0
	s_and_saveexec_b64 s[18:19], vcc
	s_cbranch_execz .LBB0_394
; %bb.389:                              ;   in Loop: Header=BB0_264 Depth=3
	v_cmp_ne_u16_e32 vcc, s61, v22
	v_bfrev_b32_e32 v25, 1
	s_and_saveexec_b64 s[46:47], vcc
	s_cbranch_execz .LBB0_393
; %bb.390:                              ;   in Loop: Header=BB0_264 Depth=3
	v_bfe_u32 v22, v42, 16, 7
	v_cmp_ne_u32_e32 vcc, s62, v22
	v_mov_b32_e32 v25, 0x7f800001
	s_and_saveexec_b64 s[48:49], vcc
	s_cbranch_execz .LBB0_392
; %bb.391:                              ;   in Loop: Header=BB0_264 Depth=3
	v_and_b32_e32 v23, 7, v24
	v_ffbh_u32_e32 v25, v23
	v_min_u32_e32 v27, 32, v25
	v_subrev_u32_e32 v25, 28, v27
	v_lshlrev_b64 v[24:25], v25, v[24:25]
	v_lshrrev_b32_e32 v26, 3, v22
	v_sub_u32_e32 v25, 29, v27
	v_and_b32_e32 v24, 7, v24
	v_cmp_gt_u32_e32 vcc, 8, v22
	v_cndmask_b32_e32 v22, v26, v25, vcc
	v_cndmask_b32_e32 v23, v23, v24, vcc
	v_lshlrev_b32_sdwa v24, v7, v42 dst_sel:DWORD dst_unused:UNUSED_PAD src0_sel:DWORD src1_sel:WORD_1
	v_lshlrev_b32_e32 v23, 20, v23
	v_and_b32_e32 v24, 0x80000000, v24
	v_lshl_add_u32 v22, v22, 23, v47
	v_or3_b32 v25, v24, v22, v23
.LBB0_392:                              ;   in Loop: Header=BB0_264 Depth=3
	s_or_b64 exec, exec, s[48:49]
.LBB0_393:                              ;   in Loop: Header=BB0_264 Depth=3
	s_or_b64 exec, exec, s[46:47]
.LBB0_394:                              ;   in Loop: Header=BB0_264 Depth=3
	s_or_b64 exec, exec, s[18:19]
	v_mul_f32_e32 v44, v62, v25
	v_and_b32_sdwa v27, v44, s61 dst_sel:DWORD dst_unused:UNUSED_PAD src0_sel:BYTE_3 src1_sel:DWORD
	v_and_b32_e32 v22, 0x7f800000, v44
	v_mov_b32_e32 v23, v43
	v_and_b32_e32 v24, 0x7fffff, v44
	v_mov_b32_e32 v25, v43
	v_or_b32_e32 v26, 0x7e, v27
	v_cmp_ne_u64_e32 vcc, s[36:37], v[22:23]
	s_and_saveexec_b64 s[18:19], vcc
	s_xor_b64 s[46:47], exec, s[18:19]
	s_cbranch_execz .LBB0_404
; %bb.395:                              ;   in Loop: Header=BB0_264 Depth=3
	v_and_b32_e32 v22, 0x7fffffff, v44
	v_mov_b32_e32 v23, v43
	v_cmp_gt_u64_e32 vcc, s[38:39], v[22:23]
	s_and_saveexec_b64 s[48:49], vcc
	s_cbranch_execz .LBB0_403
; %bb.396:                              ;   in Loop: Header=BB0_264 Depth=3
	v_cmp_ne_u32_e32 vcc, 0, v44
	v_mov_b32_e32 v26, 0
	s_and_saveexec_b64 s[50:51], vcc
	s_cbranch_execz .LBB0_402
; %bb.397:                              ;   in Loop: Header=BB0_264 Depth=3
	v_bfe_u32 v22, v44, 23, 8
	v_sub_u32_e32 v26, 0x79, v22
	v_cmp_gt_u32_e32 vcc, s63, v22
	v_cndmask_b32_e32 v26, 0, v26, vcc
	v_cmp_eq_u32_e32 vcc, 0, v22
	v_cndmask_b32_e32 v26, v26, v6, vcc
	v_add_u32_e32 v23, 0xffffff81, v22
	v_add_u32_e32 v22, 20, v26
	v_or_b32_e32 v36, 0x800000, v24
	v_cndmask_b32_e32 v44, v23, v30, vcc
	v_lshlrev_b64 v[22:23], v22, -1
	v_cndmask_b32_e32 v24, v36, v24, vcc
	v_not_b32_e32 v22, v22
	v_not_b32_e32 v23, v23
	v_and_b32_e32 v36, v24, v22
	v_add_u32_e32 v22, 19, v26
	v_lshrrev_b64 v[24:25], v26, v[24:25]
	v_and_b32_e32 v37, 0, v23
	v_lshlrev_b64 v[50:51], v22, 1
	v_bfe_u32 v23, v24, 20, 1
	v_add_u32_e32 v23, -1, v23
	v_cmp_eq_u64_e32 vcc, v[36:37], v[50:51]
	v_cndmask_b32_e32 v23, 0, v23, vcc
	v_add_u32_e32 v23, v23, v24
	v_lshrrev_b32_e32 v22, 23, v24
	v_and_b32_e32 v23, 0xfffff, v23
	v_add3_u32 v22, v26, v44, v22
	v_add_co_u32_e32 v24, vcc, v23, v24
	v_add_u32_e32 v44, 6, v22
	v_addc_co_u32_e32 v25, vcc, 0, v25, vcc
	v_cmp_ne_u32_e32 vcc, 0, v44
                                        ; implicit-def: $vgpr26
	s_and_saveexec_b64 s[18:19], vcc
	s_xor_b64 s[18:19], exec, s[18:19]
; %bb.398:                              ;   in Loop: Header=BB0_264 Depth=3
	v_add_u32_e32 v22, 7, v22
	v_cmp_lt_u64_e32 vcc, s[40:41], v[24:25]
	v_cndmask_b32_e32 v26, v44, v22, vcc
	v_cndmask_b32_e64 v22, 0, 1, vcc
	v_lshrrev_b64 v[24:25], v22, v[24:25]
; %bb.399:                              ;   in Loop: Header=BB0_264 Depth=3
	s_andn2_saveexec_b64 s[18:19], s[18:19]
; %bb.400:                              ;   in Loop: Header=BB0_264 Depth=3
	v_bfe_u32 v26, v24, 23, 1
; %bb.401:                              ;   in Loop: Header=BB0_264 Depth=3
	s_or_b64 exec, exec, s[18:19]
	v_lshrrev_b64 v[22:23], 20, v[24:25]
	v_cmp_gt_i32_e32 vcc, 16, v26
	v_cndmask_b32_e32 v23, 0, v23, vcc
	v_cndmask_b32_e32 v22, 7, v22, vcc
	v_cmp_eq_u64_e64 s[18:19], 0, v[22:23]
	v_min_i32_e32 v23, 15, v26
	v_lshlrev_b32_e32 v23, 3, v23
	v_cmp_eq_u32_e32 vcc, 0, v26
	v_and_b32_e32 v23, 0xf8, v23
	v_and_or_b32 v22, v22, 7, v23
	s_and_b64 s[18:19], vcc, s[18:19]
	v_cndmask_b32_e64 v22, v22, 0, s[18:19]
	v_or_b32_e32 v26, v22, v27
.LBB0_402:                              ;   in Loop: Header=BB0_264 Depth=3
	s_or_b64 exec, exec, s[50:51]
.LBB0_403:                              ;   in Loop: Header=BB0_264 Depth=3
	s_or_b64 exec, exec, s[48:49]
                                        ; implicit-def: $vgpr44
                                        ; implicit-def: $vgpr24_vgpr25
.LBB0_404:                              ;   in Loop: Header=BB0_264 Depth=3
	s_andn2_saveexec_b64 s[18:19], s[46:47]
; %bb.405:                              ;   in Loop: Header=BB0_264 Depth=3
	v_or_b32_sdwa v22, v44, s62 dst_sel:DWORD dst_unused:UNUSED_PAD src0_sel:BYTE_3 src1_sel:DWORD
	v_cmp_eq_u64_e32 vcc, 0, v[24:25]
	v_cndmask_b32_e32 v26, v22, v26, vcc
; %bb.406:                              ;   in Loop: Header=BB0_264 Depth=3
	s_or_b64 exec, exec, s[18:19]
	v_cmp_lt_u32_e32 vcc, s64, v42
	v_mov_b32_e32 v25, 0
	s_and_saveexec_b64 s[18:19], vcc
	s_cbranch_execz .LBB0_412
; %bb.407:                              ;   in Loop: Header=BB0_264 Depth=3
	v_lshrrev_b32_e32 v24, 24, v42
	v_cmp_ne_u32_sdwa vcc, v42, s61 src0_sel:BYTE_3 src1_sel:DWORD
	v_bfrev_b32_e32 v25, 1
	s_and_saveexec_b64 s[46:47], vcc
	s_cbranch_execz .LBB0_411
; %bb.408:                              ;   in Loop: Header=BB0_264 Depth=3
	v_bfe_u32 v22, v42, 24, 7
	v_cmp_ne_u32_e32 vcc, s62, v22
	v_mov_b32_e32 v25, 0x7f800001
	s_and_saveexec_b64 s[48:49], vcc
	s_cbranch_execz .LBB0_410
; %bb.409:                              ;   in Loop: Header=BB0_264 Depth=3
	v_and_b32_e32 v23, 7, v24
	v_ffbh_u32_e32 v25, v23
	v_min_u32_e32 v36, 32, v25
	v_subrev_u32_e32 v25, 28, v36
	v_lshlrev_b64 v[24:25], v25, v[24:25]
	v_lshrrev_b32_e32 v27, 3, v22
	v_sub_u32_e32 v25, 29, v36
	v_and_b32_e32 v24, 7, v24
	v_cmp_gt_u32_e32 vcc, 8, v22
	v_cndmask_b32_e32 v22, v27, v25, vcc
	v_cndmask_b32_e32 v23, v23, v24, vcc
	v_lshlrev_b32_sdwa v24, v7, v42 dst_sel:DWORD dst_unused:UNUSED_PAD src0_sel:DWORD src1_sel:BYTE_3
	v_lshlrev_b32_e32 v23, 20, v23
	v_and_b32_e32 v24, 0x80000000, v24
	v_lshl_add_u32 v22, v22, 23, v47
	v_or3_b32 v25, v24, v22, v23
.LBB0_410:                              ;   in Loop: Header=BB0_264 Depth=3
	s_or_b64 exec, exec, s[48:49]
.LBB0_411:                              ;   in Loop: Header=BB0_264 Depth=3
	s_or_b64 exec, exec, s[46:47]
.LBB0_412:                              ;   in Loop: Header=BB0_264 Depth=3
	s_or_b64 exec, exec, s[18:19]
	v_mul_f32_e32 v24, v62, v25
	v_and_b32_sdwa v44, v24, s61 dst_sel:DWORD dst_unused:UNUSED_PAD src0_sel:BYTE_3 src1_sel:DWORD
	v_and_b32_e32 v22, 0x7f800000, v24
	v_mov_b32_e32 v23, v43
	v_and_b32_e32 v42, 0x7fffff, v24
	v_or_b32_e32 v27, 0x7e, v44
	v_cmp_ne_u64_e32 vcc, s[36:37], v[22:23]
	s_and_saveexec_b64 s[18:19], vcc
	s_xor_b64 s[46:47], exec, s[18:19]
	s_cbranch_execz .LBB0_422
; %bb.413:                              ;   in Loop: Header=BB0_264 Depth=3
	v_and_b32_e32 v22, 0x7fffffff, v24
	v_mov_b32_e32 v23, v43
	v_cmp_gt_u64_e32 vcc, s[38:39], v[22:23]
	s_and_saveexec_b64 s[48:49], vcc
	s_cbranch_execz .LBB0_421
; %bb.414:                              ;   in Loop: Header=BB0_264 Depth=3
	v_cmp_ne_u32_e32 vcc, 0, v24
	v_mov_b32_e32 v27, 0
	s_and_saveexec_b64 s[50:51], vcc
	s_cbranch_execz .LBB0_420
; %bb.415:                              ;   in Loop: Header=BB0_264 Depth=3
	v_bfe_u32 v22, v24, 23, 8
	v_sub_u32_e32 v24, 0x79, v22
	v_cmp_gt_u32_e32 vcc, s63, v22
	v_cndmask_b32_e32 v24, 0, v24, vcc
	v_cmp_eq_u32_e32 vcc, 0, v22
	v_cndmask_b32_e32 v38, v24, v6, vcc
	v_add_u32_e32 v23, 0xffffff81, v22
	v_add_u32_e32 v22, 20, v38
	v_or_b32_e32 v25, 0x800000, v42
	v_cndmask_b32_e32 v27, v23, v30, vcc
	v_lshlrev_b64 v[22:23], v22, -1
	v_cndmask_b32_e32 v42, v25, v42, vcc
	v_not_b32_e32 v22, v22
	v_not_b32_e32 v23, v23
	v_and_b32_e32 v24, v42, v22
	v_add_u32_e32 v22, 19, v38
	v_lshrrev_b64 v[50:51], v38, v[42:43]
	v_and_b32_e32 v25, 0, v23
	v_lshlrev_b64 v[36:37], v22, 1
	v_bfe_u32 v23, v50, 20, 1
	v_add_u32_e32 v23, -1, v23
	v_cmp_eq_u64_e32 vcc, v[24:25], v[36:37]
	v_cndmask_b32_e32 v23, 0, v23, vcc
	v_add_u32_e32 v23, v23, v50
	v_lshrrev_b32_e32 v22, 23, v50
	v_and_b32_e32 v23, 0xfffff, v23
	v_add3_u32 v22, v38, v27, v22
	v_add_co_u32_e32 v24, vcc, v23, v50
	v_add_u32_e32 v42, 6, v22
	v_addc_co_u32_e32 v25, vcc, 0, v51, vcc
	v_cmp_ne_u32_e32 vcc, 0, v42
                                        ; implicit-def: $vgpr27
	s_and_saveexec_b64 s[18:19], vcc
	s_xor_b64 s[18:19], exec, s[18:19]
; %bb.416:                              ;   in Loop: Header=BB0_264 Depth=3
	v_add_u32_e32 v22, 7, v22
	v_cmp_lt_u64_e32 vcc, s[40:41], v[24:25]
	v_cndmask_b32_e32 v27, v42, v22, vcc
	v_cndmask_b32_e64 v22, 0, 1, vcc
	v_lshrrev_b64 v[24:25], v22, v[24:25]
; %bb.417:                              ;   in Loop: Header=BB0_264 Depth=3
	s_andn2_saveexec_b64 s[18:19], s[18:19]
; %bb.418:                              ;   in Loop: Header=BB0_264 Depth=3
	v_bfe_u32 v27, v24, 23, 1
; %bb.419:                              ;   in Loop: Header=BB0_264 Depth=3
	s_or_b64 exec, exec, s[18:19]
	v_lshrrev_b64 v[22:23], 20, v[24:25]
	v_cmp_gt_i32_e32 vcc, 16, v27
	v_cndmask_b32_e32 v23, 0, v23, vcc
	v_cndmask_b32_e32 v22, 7, v22, vcc
	v_cmp_eq_u64_e64 s[18:19], 0, v[22:23]
	v_min_i32_e32 v23, 15, v27
	v_lshlrev_b32_e32 v23, 3, v23
	v_cmp_eq_u32_e32 vcc, 0, v27
	v_and_b32_e32 v23, 0xf8, v23
	v_and_or_b32 v22, v22, 7, v23
	s_and_b64 s[18:19], vcc, s[18:19]
	v_cndmask_b32_e64 v22, v22, 0, s[18:19]
	v_or_b32_e32 v27, v22, v44
.LBB0_420:                              ;   in Loop: Header=BB0_264 Depth=3
	s_or_b64 exec, exec, s[50:51]
.LBB0_421:                              ;   in Loop: Header=BB0_264 Depth=3
	s_or_b64 exec, exec, s[48:49]
                                        ; implicit-def: $vgpr24
.LBB0_422:                              ;   in Loop: Header=BB0_264 Depth=3
	s_andn2_saveexec_b64 s[18:19], s[46:47]
; %bb.423:                              ;   in Loop: Header=BB0_264 Depth=3
	v_or_b32_sdwa v22, v24, s62 dst_sel:DWORD dst_unused:UNUSED_PAD src0_sel:BYTE_3 src1_sel:DWORD
	v_cmp_eq_u64_e32 vcc, 0, v[42:43]
	v_cndmask_b32_e32 v27, v22, v27, vcc
; %bb.424:                              ;   in Loop: Header=BB0_264 Depth=3
	s_or_b64 exec, exec, s[18:19]
	s_waitcnt vmcnt(0)
	v_cmp_ne_u16_sdwa vcc, v16, v43 src0_sel:BYTE_0 src1_sel:DWORD
	v_mov_b32_e32 v25, 0
	v_mov_b32_e32 v24, 0
	s_and_saveexec_b64 s[18:19], vcc
	s_cbranch_execz .LBB0_430
; %bb.425:                              ;   in Loop: Header=BB0_264 Depth=3
	v_cmp_ne_u16_sdwa vcc, v16, s61 src0_sel:BYTE_0 src1_sel:DWORD
	v_bfrev_b32_e32 v24, 1
	s_and_saveexec_b64 s[46:47], vcc
	s_cbranch_execz .LBB0_429
; %bb.426:                              ;   in Loop: Header=BB0_264 Depth=3
	v_and_b32_e32 v22, 0x7f, v16
	v_cmp_ne_u32_e32 vcc, s62, v22
	v_mov_b32_e32 v24, 0x7f800001
	s_and_saveexec_b64 s[48:49], vcc
	s_cbranch_execz .LBB0_428
; %bb.427:                              ;   in Loop: Header=BB0_264 Depth=3
	v_and_b32_e32 v23, 7, v16
	v_ffbh_u32_e32 v23, v23
	v_min_u32_e32 v23, 32, v23
	v_subrev_u32_e32 v36, 28, v23
	v_cmp_gt_u32_e32 vcc, 8, v22
	v_lshrrev_b32_e32 v24, 3, v22
	v_sub_u32_e32 v23, 29, v23
	v_cndmask_b32_e32 v22, 0, v36, vcc
	v_cndmask_b32_e32 v24, v24, v23, vcc
	v_lshlrev_b64 v[22:23], v22, v[16:17]
	v_lshlrev_b32_e32 v17, 20, v22
	v_lshlrev_b32_e32 v22, 24, v16
	v_and_b32_e32 v17, 0x700000, v17
	v_and_b32_e32 v22, 0x80000000, v22
	v_lshl_add_u32 v23, v24, 23, v47
	v_or3_b32 v24, v22, v23, v17
.LBB0_428:                              ;   in Loop: Header=BB0_264 Depth=3
	s_or_b64 exec, exec, s[48:49]
.LBB0_429:                              ;   in Loop: Header=BB0_264 Depth=3
	s_or_b64 exec, exec, s[46:47]
.LBB0_430:                              ;   in Loop: Header=BB0_264 Depth=3
	s_or_b64 exec, exec, s[18:19]
	v_lshlrev_b32_e32 v17, 8, v61
	v_cmp_ne_u16_sdwa vcc, v1, v43 src0_sel:BYTE_0 src1_sel:DWORD
	s_and_saveexec_b64 s[18:19], vcc
	s_cbranch_execz .LBB0_436
; %bb.431:                              ;   in Loop: Header=BB0_264 Depth=3
	v_cmp_ne_u16_sdwa vcc, v1, s61 src0_sel:BYTE_0 src1_sel:DWORD
	v_bfrev_b32_e32 v25, 1
	s_and_saveexec_b64 s[46:47], vcc
	s_cbranch_execz .LBB0_435
; %bb.432:                              ;   in Loop: Header=BB0_264 Depth=3
	v_and_b32_e32 v22, 0x7f, v1
	v_cmp_ne_u32_e32 vcc, s62, v22
	v_mov_b32_e32 v25, 0x7f800001
	s_and_saveexec_b64 s[48:49], vcc
	s_cbranch_execz .LBB0_434
; %bb.433:                              ;   in Loop: Header=BB0_264 Depth=3
	v_and_b32_e32 v23, 7, v1
	v_ffbh_u32_e32 v23, v23
	v_min_u32_e32 v23, 32, v23
	v_subrev_u32_e32 v37, 28, v23
	v_cmp_gt_u32_e32 vcc, 8, v22
	v_lshrrev_b32_e32 v25, 3, v22
	v_perm_b32 v36, v17, v1, s65
	v_sub_u32_e32 v23, 29, v23
	v_cndmask_b32_e32 v22, 0, v37, vcc
	v_cndmask_b32_e32 v25, v25, v23, vcc
	v_lshlrev_b64 v[22:23], v22, v[36:37]
	v_lshlrev_b32_e32 v22, 20, v22
	v_lshlrev_b32_e32 v1, 24, v1
	v_and_b32_e32 v22, 0x700000, v22
	v_and_b32_e32 v1, 0x80000000, v1
	v_lshl_add_u32 v23, v25, 23, v47
	v_or3_b32 v25, v1, v23, v22
.LBB0_434:                              ;   in Loop: Header=BB0_264 Depth=3
	s_or_b64 exec, exec, s[48:49]
.LBB0_435:                              ;   in Loop: Header=BB0_264 Depth=3
	s_or_b64 exec, exec, s[46:47]
.LBB0_436:                              ;   in Loop: Header=BB0_264 Depth=3
	s_or_b64 exec, exec, s[18:19]
	v_add_f32_e32 v24, v24, v25
	v_and_b32_sdwa v44, v24, s61 dst_sel:DWORD dst_unused:UNUSED_PAD src0_sel:BYTE_3 src1_sel:DWORD
	v_and_b32_e32 v22, 0x7f800000, v24
	v_mov_b32_e32 v23, v43
	v_and_b32_e32 v42, 0x7fffff, v24
	v_or_b32_e32 v1, 0x7e, v44
	v_cmp_ne_u64_e32 vcc, s[36:37], v[22:23]
	s_and_saveexec_b64 s[18:19], vcc
	s_xor_b64 s[46:47], exec, s[18:19]
	s_cbranch_execz .LBB0_446
; %bb.437:                              ;   in Loop: Header=BB0_264 Depth=3
	v_and_b32_e32 v22, 0x7fffffff, v24
	v_mov_b32_e32 v23, v43
	v_cmp_gt_u64_e32 vcc, s[38:39], v[22:23]
	s_and_saveexec_b64 s[48:49], vcc
	s_cbranch_execz .LBB0_445
; %bb.438:                              ;   in Loop: Header=BB0_264 Depth=3
	v_cmp_ne_u32_e32 vcc, 0, v24
	v_mov_b32_e32 v1, 0
	s_and_saveexec_b64 s[50:51], vcc
	s_cbranch_execz .LBB0_444
; %bb.439:                              ;   in Loop: Header=BB0_264 Depth=3
	v_bfe_u32 v1, v24, 23, 8
	v_sub_u32_e32 v23, 0x79, v1
	v_cmp_gt_u32_e32 vcc, s63, v1
	v_cndmask_b32_e32 v23, 0, v23, vcc
	v_cmp_eq_u32_e32 vcc, 0, v1
	v_add_u32_e32 v22, 0xffffff81, v1
	v_cndmask_b32_e32 v38, v23, v6, vcc
	v_cndmask_b32_e32 v1, v22, v30, vcc
	v_add_u32_e32 v22, 20, v38
	v_or_b32_e32 v24, 0x800000, v42
	v_lshlrev_b64 v[22:23], v22, -1
	v_cndmask_b32_e32 v42, v24, v42, vcc
	v_not_b32_e32 v22, v22
	v_and_b32_e32 v24, v42, v22
	v_add_u32_e32 v22, 19, v38
	v_lshrrev_b64 v[50:51], v38, v[42:43]
	v_not_b32_e32 v23, v23
	v_lshlrev_b64 v[36:37], v22, 1
	v_lshrrev_b32_e32 v22, 23, v50
	v_and_b32_e32 v25, 0, v23
	v_add3_u32 v22, v38, v1, v22
	v_bfe_u32 v1, v50, 20, 1
	v_add_u32_e32 v1, -1, v1
	v_cmp_eq_u64_e32 vcc, v[24:25], v[36:37]
	v_cndmask_b32_e32 v1, 0, v1, vcc
	v_add_u32_e32 v1, v1, v50
	v_and_b32_e32 v1, 0xfffff, v1
	v_add_co_u32_e32 v24, vcc, v1, v50
	v_add_u32_e32 v42, 6, v22
	v_addc_co_u32_e32 v25, vcc, 0, v51, vcc
	v_cmp_ne_u32_e32 vcc, 0, v42
                                        ; implicit-def: $vgpr1
	s_and_saveexec_b64 s[18:19], vcc
	s_xor_b64 s[18:19], exec, s[18:19]
; %bb.440:                              ;   in Loop: Header=BB0_264 Depth=3
	v_cmp_lt_u64_e32 vcc, s[40:41], v[24:25]
	v_add_u32_e32 v1, 7, v22
	v_cndmask_b32_e64 v22, 0, 1, vcc
	v_cndmask_b32_e32 v1, v42, v1, vcc
	v_lshrrev_b64 v[24:25], v22, v[24:25]
; %bb.441:                              ;   in Loop: Header=BB0_264 Depth=3
	s_andn2_saveexec_b64 s[18:19], s[18:19]
; %bb.442:                              ;   in Loop: Header=BB0_264 Depth=3
	v_bfe_u32 v1, v24, 23, 1
; %bb.443:                              ;   in Loop: Header=BB0_264 Depth=3
	s_or_b64 exec, exec, s[18:19]
	v_lshrrev_b64 v[22:23], 20, v[24:25]
	v_cmp_gt_i32_e32 vcc, 16, v1
	v_cndmask_b32_e32 v23, 0, v23, vcc
	v_cndmask_b32_e32 v22, 7, v22, vcc
	v_cmp_eq_u32_e32 vcc, 0, v1
	v_min_i32_e32 v1, 15, v1
	v_cmp_eq_u64_e64 s[18:19], 0, v[22:23]
	v_lshlrev_b32_e32 v1, 3, v1
	v_and_or_b32 v1, v22, 7, v1
	s_and_b64 s[18:19], vcc, s[18:19]
	v_cndmask_b32_e64 v1, v1, 0, s[18:19]
	v_or_b32_e32 v1, v1, v44
.LBB0_444:                              ;   in Loop: Header=BB0_264 Depth=3
	s_or_b64 exec, exec, s[50:51]
.LBB0_445:                              ;   in Loop: Header=BB0_264 Depth=3
	s_or_b64 exec, exec, s[48:49]
                                        ; implicit-def: $vgpr24
.LBB0_446:                              ;   in Loop: Header=BB0_264 Depth=3
	s_andn2_saveexec_b64 s[18:19], s[46:47]
; %bb.447:                              ;   in Loop: Header=BB0_264 Depth=3
	v_or_b32_sdwa v22, v24, s62 dst_sel:DWORD dst_unused:UNUSED_PAD src0_sel:BYTE_3 src1_sel:DWORD
	v_cmp_eq_u64_e32 vcc, 0, v[42:43]
	v_cndmask_b32_e32 v1, v22, v1, vcc
; %bb.448:                              ;   in Loop: Header=BB0_264 Depth=3
	s_or_b64 exec, exec, s[18:19]
	v_lshrrev_b16_e32 v24, 8, v16
	v_cmp_ne_u16_e32 vcc, 0, v24
	v_mov_b32_e32 v25, 0
	v_mov_b32_e32 v42, 0
	s_and_saveexec_b64 s[18:19], vcc
	s_cbranch_execz .LBB0_454
; %bb.449:                              ;   in Loop: Header=BB0_264 Depth=3
	v_cmp_ne_u16_e32 vcc, s61, v24
	v_bfrev_b32_e32 v42, 1
	s_and_saveexec_b64 s[46:47], vcc
	s_cbranch_execz .LBB0_453
; %bb.450:                              ;   in Loop: Header=BB0_264 Depth=3
	v_and_b32_e32 v22, 0x7f, v24
	v_cmp_ne_u32_e32 vcc, s62, v22
	v_mov_b32_e32 v42, 0x7f800001
	s_and_saveexec_b64 s[48:49], vcc
	s_cbranch_execz .LBB0_452
; %bb.451:                              ;   in Loop: Header=BB0_264 Depth=3
	v_and_b32_e32 v23, 7, v24
	v_ffbh_u32_e32 v36, v23
	v_min_u32_e32 v39, 32, v36
	v_subrev_u32_e32 v36, 28, v39
	v_lshlrev_b64 v[36:37], v36, v[24:25]
	v_lshrrev_b32_e32 v38, 3, v22
	v_sub_u32_e32 v24, 29, v39
	v_and_b32_e32 v36, 7, v36
	v_cmp_gt_u32_e32 vcc, 8, v22
	v_cndmask_b32_e32 v22, v38, v24, vcc
	v_cndmask_b32_e32 v23, v23, v36, vcc
	v_lshlrev_b32_e32 v24, 16, v16
	v_lshlrev_b32_e32 v23, 20, v23
	v_and_b32_e32 v24, 0x80000000, v24
	v_lshl_add_u32 v22, v22, 23, v47
	v_or3_b32 v42, v24, v22, v23
.LBB0_452:                              ;   in Loop: Header=BB0_264 Depth=3
	s_or_b64 exec, exec, s[48:49]
.LBB0_453:                              ;   in Loop: Header=BB0_264 Depth=3
	s_or_b64 exec, exec, s[46:47]
.LBB0_454:                              ;   in Loop: Header=BB0_264 Depth=3
	s_or_b64 exec, exec, s[18:19]
	v_lshrrev_b16_e32 v24, 8, v17
	v_cmp_ne_u16_e32 vcc, 0, v24
	s_and_saveexec_b64 s[18:19], vcc
	s_cbranch_execz .LBB0_460
; %bb.455:                              ;   in Loop: Header=BB0_264 Depth=3
	v_cmp_ne_u16_e32 vcc, s61, v24
	v_bfrev_b32_e32 v25, 1
	s_and_saveexec_b64 s[46:47], vcc
	s_cbranch_execz .LBB0_459
; %bb.456:                              ;   in Loop: Header=BB0_264 Depth=3
	v_and_b32_e32 v22, 0x7f, v24
	v_cmp_ne_u32_e32 vcc, s62, v22
	v_mov_b32_e32 v25, 0x7f800001
	s_and_saveexec_b64 s[48:49], vcc
	s_cbranch_execz .LBB0_458
; %bb.457:                              ;   in Loop: Header=BB0_264 Depth=3
	v_and_b32_e32 v23, 7, v24
	v_ffbh_u32_e32 v25, v23
	v_min_u32_e32 v37, 32, v25
	v_subrev_u32_e32 v25, 28, v37
	v_lshlrev_b64 v[24:25], v25, v[24:25]
	v_lshrrev_b32_e32 v36, 3, v22
	v_sub_u32_e32 v25, 29, v37
	v_and_b32_e32 v24, 7, v24
	v_cmp_gt_u32_e32 vcc, 8, v22
	v_cndmask_b32_e32 v22, v36, v25, vcc
	v_cndmask_b32_e32 v23, v23, v24, vcc
	v_lshlrev_b32_e32 v17, 16, v17
	v_lshlrev_b32_e32 v23, 20, v23
	v_and_b32_e32 v17, 0x80000000, v17
	v_lshl_add_u32 v22, v22, 23, v47
	v_or3_b32 v25, v17, v22, v23
.LBB0_458:                              ;   in Loop: Header=BB0_264 Depth=3
	s_or_b64 exec, exec, s[48:49]
.LBB0_459:                              ;   in Loop: Header=BB0_264 Depth=3
	s_or_b64 exec, exec, s[46:47]
.LBB0_460:                              ;   in Loop: Header=BB0_264 Depth=3
	s_or_b64 exec, exec, s[18:19]
	v_add_f32_e32 v24, v42, v25
	v_and_b32_sdwa v17, v24, s61 dst_sel:DWORD dst_unused:UNUSED_PAD src0_sel:BYTE_3 src1_sel:DWORD
	v_and_b32_e32 v22, 0x7f800000, v24
	v_mov_b32_e32 v23, v43
	v_and_b32_e32 v42, 0x7fffff, v24
	v_or_b32_e32 v61, 0x7e, v17
	v_cmp_ne_u64_e32 vcc, s[36:37], v[22:23]
	s_and_saveexec_b64 s[18:19], vcc
	s_xor_b64 s[46:47], exec, s[18:19]
	s_cbranch_execz .LBB0_470
; %bb.461:                              ;   in Loop: Header=BB0_264 Depth=3
	v_and_b32_e32 v22, 0x7fffffff, v24
	v_mov_b32_e32 v23, v43
	v_cmp_gt_u64_e32 vcc, s[38:39], v[22:23]
	s_and_saveexec_b64 s[48:49], vcc
	s_cbranch_execz .LBB0_469
; %bb.462:                              ;   in Loop: Header=BB0_264 Depth=3
	v_cmp_ne_u32_e32 vcc, 0, v24
	v_mov_b32_e32 v61, 0
	s_and_saveexec_b64 s[50:51], vcc
	s_cbranch_execz .LBB0_468
; %bb.463:                              ;   in Loop: Header=BB0_264 Depth=3
	v_bfe_u32 v22, v24, 23, 8
	v_sub_u32_e32 v24, 0x79, v22
	v_cmp_gt_u32_e32 vcc, s63, v22
	v_cndmask_b32_e32 v24, 0, v24, vcc
	v_cmp_eq_u32_e32 vcc, 0, v22
	v_cndmask_b32_e32 v39, v24, v6, vcc
	v_add_u32_e32 v23, 0xffffff81, v22
	v_add_u32_e32 v22, 20, v39
	v_or_b32_e32 v25, 0x800000, v42
	v_cndmask_b32_e32 v38, v23, v30, vcc
	v_lshlrev_b64 v[22:23], v22, -1
	v_cndmask_b32_e32 v42, v25, v42, vcc
	v_not_b32_e32 v22, v22
	v_not_b32_e32 v23, v23
	v_and_b32_e32 v24, v42, v22
	v_add_u32_e32 v22, 19, v39
	v_lshrrev_b64 v[50:51], v39, v[42:43]
	v_and_b32_e32 v25, 0, v23
	v_lshlrev_b64 v[36:37], v22, 1
	v_bfe_u32 v23, v50, 20, 1
	v_add_u32_e32 v23, -1, v23
	v_cmp_eq_u64_e32 vcc, v[24:25], v[36:37]
	v_cndmask_b32_e32 v23, 0, v23, vcc
	v_add_u32_e32 v23, v23, v50
	v_lshrrev_b32_e32 v22, 23, v50
	v_and_b32_e32 v23, 0xfffff, v23
	v_add3_u32 v22, v39, v38, v22
	v_add_co_u32_e32 v24, vcc, v23, v50
	v_add_u32_e32 v44, 6, v22
	v_addc_co_u32_e32 v25, vcc, 0, v51, vcc
	v_cmp_ne_u32_e32 vcc, 0, v44
                                        ; implicit-def: $vgpr42
	s_and_saveexec_b64 s[18:19], vcc
	s_xor_b64 s[18:19], exec, s[18:19]
; %bb.464:                              ;   in Loop: Header=BB0_264 Depth=3
	v_add_u32_e32 v22, 7, v22
	v_cmp_lt_u64_e32 vcc, s[40:41], v[24:25]
	v_cndmask_b32_e32 v42, v44, v22, vcc
	v_cndmask_b32_e64 v22, 0, 1, vcc
	v_lshrrev_b64 v[24:25], v22, v[24:25]
; %bb.465:                              ;   in Loop: Header=BB0_264 Depth=3
	s_andn2_saveexec_b64 s[18:19], s[18:19]
; %bb.466:                              ;   in Loop: Header=BB0_264 Depth=3
	v_bfe_u32 v42, v24, 23, 1
; %bb.467:                              ;   in Loop: Header=BB0_264 Depth=3
	s_or_b64 exec, exec, s[18:19]
	v_lshrrev_b64 v[22:23], 20, v[24:25]
	v_cmp_gt_i32_e32 vcc, 16, v42
	v_cndmask_b32_e32 v23, 0, v23, vcc
	v_cndmask_b32_e32 v22, 7, v22, vcc
	v_cmp_eq_u64_e64 s[18:19], 0, v[22:23]
	v_min_i32_e32 v23, 15, v42
	v_cmp_eq_u32_e32 vcc, 0, v42
	v_lshlrev_b32_e32 v23, 3, v23
	v_and_or_b32 v22, v22, 7, v23
	s_and_b64 s[18:19], vcc, s[18:19]
	v_cndmask_b32_e64 v22, v22, 0, s[18:19]
	v_or_b32_e32 v61, v22, v17
.LBB0_468:                              ;   in Loop: Header=BB0_264 Depth=3
	s_or_b64 exec, exec, s[50:51]
.LBB0_469:                              ;   in Loop: Header=BB0_264 Depth=3
	s_or_b64 exec, exec, s[48:49]
                                        ; implicit-def: $vgpr24
.LBB0_470:                              ;   in Loop: Header=BB0_264 Depth=3
	s_andn2_saveexec_b64 s[18:19], s[46:47]
; %bb.471:                              ;   in Loop: Header=BB0_264 Depth=3
	v_or_b32_sdwa v17, v24, s62 dst_sel:DWORD dst_unused:UNUSED_PAD src0_sel:BYTE_3 src1_sel:DWORD
	v_cmp_eq_u64_e32 vcc, 0, v[42:43]
	v_cndmask_b32_e32 v61, v17, v61, vcc
; %bb.472:                              ;   in Loop: Header=BB0_264 Depth=3
	s_or_b64 exec, exec, s[18:19]
	v_lshrrev_b32_e32 v24, 16, v16
	v_cmp_ne_u16_sdwa vcc, v24, v43 src0_sel:BYTE_0 src1_sel:DWORD
	v_mov_b32_e32 v17, 0
	v_mov_b32_e32 v25, 0
	s_and_saveexec_b64 s[18:19], vcc
	s_cbranch_execz .LBB0_478
; %bb.473:                              ;   in Loop: Header=BB0_264 Depth=3
	v_cmp_ne_u16_sdwa vcc, v24, s61 src0_sel:BYTE_0 src1_sel:DWORD
	v_bfrev_b32_e32 v25, 1
	s_and_saveexec_b64 s[46:47], vcc
	s_cbranch_execz .LBB0_477
; %bb.474:                              ;   in Loop: Header=BB0_264 Depth=3
	v_bfe_u32 v22, v16, 16, 7
	v_cmp_ne_u32_e32 vcc, s62, v22
	v_mov_b32_e32 v25, 0x7f800001
	s_and_saveexec_b64 s[48:49], vcc
	s_cbranch_execz .LBB0_476
; %bb.475:                              ;   in Loop: Header=BB0_264 Depth=3
	v_and_b32_e32 v23, 7, v24
	v_ffbh_u32_e32 v36, v23
	v_min_u32_e32 v38, 32, v36
	v_lshrrev_b32_e32 v25, 3, v22
	v_subrev_u32_e32 v36, 28, v38
	v_lshlrev_b64 v[36:37], v36, v[24:25]
	v_sub_u32_e32 v37, 29, v38
	v_and_b32_e32 v36, 7, v36
	v_cmp_gt_u32_e32 vcc, 8, v22
	v_cndmask_b32_e32 v22, v25, v37, vcc
	v_cndmask_b32_e32 v23, v23, v36, vcc
	v_lshlrev_b32_e32 v24, 24, v24
	v_lshlrev_b32_e32 v23, 20, v23
	v_and_b32_e32 v24, 0x80000000, v24
	v_lshl_add_u32 v22, v22, 23, v47
	v_or3_b32 v25, v24, v22, v23
.LBB0_476:                              ;   in Loop: Header=BB0_264 Depth=3
	s_or_b64 exec, exec, s[48:49]
.LBB0_477:                              ;   in Loop: Header=BB0_264 Depth=3
	s_or_b64 exec, exec, s[46:47]
.LBB0_478:                              ;   in Loop: Header=BB0_264 Depth=3
	s_or_b64 exec, exec, s[18:19]
	v_cmp_ne_u16_sdwa vcc, v2, v43 src0_sel:BYTE_0 src1_sel:DWORD
	s_and_saveexec_b64 s[18:19], vcc
	s_cbranch_execz .LBB0_484
; %bb.479:                              ;   in Loop: Header=BB0_264 Depth=3
	v_cmp_ne_u16_sdwa vcc, v2, s61 src0_sel:BYTE_0 src1_sel:DWORD
	v_bfrev_b32_e32 v17, 1
	s_and_saveexec_b64 s[46:47], vcc
	s_cbranch_execz .LBB0_483
; %bb.480:                              ;   in Loop: Header=BB0_264 Depth=3
	v_and_b32_e32 v22, 0x7f, v2
	v_cmp_ne_u32_e32 vcc, s62, v22
	v_mov_b32_e32 v17, 0x7f800001
	s_and_saveexec_b64 s[48:49], vcc
	s_cbranch_execz .LBB0_482
; %bb.481:                              ;   in Loop: Header=BB0_264 Depth=3
	v_and_b32_e32 v17, 7, v2
	v_ffbh_u32_e32 v24, v17
	v_min_u32_e32 v24, 32, v24
	v_subrev_u32_e32 v36, 28, v24
	v_lshlrev_b64 v[36:37], v36, v[2:3]
	v_lshrrev_b32_e32 v23, 3, v22
	v_sub_u32_e32 v24, 29, v24
	v_and_b32_e32 v36, 7, v36
	v_cmp_gt_u32_e32 vcc, 8, v22
	v_cndmask_b32_e32 v22, v23, v24, vcc
	v_cndmask_b32_e32 v17, v17, v36, vcc
	v_lshlrev_b32_e32 v2, 24, v2
	v_lshlrev_b32_e32 v17, 20, v17
	v_and_b32_e32 v2, 0x80000000, v2
	v_lshl_add_u32 v22, v22, 23, v47
	v_or3_b32 v17, v2, v22, v17
.LBB0_482:                              ;   in Loop: Header=BB0_264 Depth=3
	s_or_b64 exec, exec, s[48:49]
.LBB0_483:                              ;   in Loop: Header=BB0_264 Depth=3
	s_or_b64 exec, exec, s[46:47]
.LBB0_484:                              ;   in Loop: Header=BB0_264 Depth=3
	s_or_b64 exec, exec, s[18:19]
	v_add_f32_e32 v17, v25, v17
	v_and_b32_sdwa v2, v17, s61 dst_sel:DWORD dst_unused:UNUSED_PAD src0_sel:BYTE_3 src1_sel:DWORD
	v_and_b32_e32 v22, 0x7f800000, v17
	v_mov_b32_e32 v23, v43
	v_and_b32_e32 v42, 0x7fffff, v17
	v_or_b32_e32 v24, 0x7e, v2
	v_cmp_ne_u64_e32 vcc, s[36:37], v[22:23]
	s_and_saveexec_b64 s[18:19], vcc
	s_xor_b64 s[46:47], exec, s[18:19]
	s_cbranch_execz .LBB0_494
; %bb.485:                              ;   in Loop: Header=BB0_264 Depth=3
	v_and_b32_e32 v22, 0x7fffffff, v17
	v_mov_b32_e32 v23, v43
	v_cmp_gt_u64_e32 vcc, s[38:39], v[22:23]
	s_and_saveexec_b64 s[48:49], vcc
	s_cbranch_execz .LBB0_493
; %bb.486:                              ;   in Loop: Header=BB0_264 Depth=3
	v_cmp_ne_u32_e32 vcc, 0, v17
	v_mov_b32_e32 v24, 0
	s_and_saveexec_b64 s[50:51], vcc
	s_cbranch_execz .LBB0_492
; %bb.487:                              ;   in Loop: Header=BB0_264 Depth=3
	v_bfe_u32 v17, v17, 23, 8
	v_sub_u32_e32 v23, 0x79, v17
	v_cmp_gt_u32_e32 vcc, s63, v17
	v_cndmask_b32_e32 v23, 0, v23, vcc
	v_cmp_eq_u32_e32 vcc, 0, v17
	v_add_u32_e32 v22, 0xffffff81, v17
	v_cndmask_b32_e32 v38, v23, v6, vcc
	v_cndmask_b32_e32 v17, v22, v30, vcc
	v_add_u32_e32 v22, 20, v38
	v_or_b32_e32 v24, 0x800000, v42
	v_lshlrev_b64 v[22:23], v22, -1
	v_cndmask_b32_e32 v42, v24, v42, vcc
	v_not_b32_e32 v22, v22
	v_and_b32_e32 v24, v42, v22
	v_add_u32_e32 v22, 19, v38
	v_lshrrev_b64 v[50:51], v38, v[42:43]
	v_not_b32_e32 v23, v23
	v_lshlrev_b64 v[36:37], v22, 1
	v_lshrrev_b32_e32 v22, 23, v50
	v_and_b32_e32 v25, 0, v23
	v_add3_u32 v22, v38, v17, v22
	v_bfe_u32 v17, v50, 20, 1
	v_add_u32_e32 v17, -1, v17
	v_cmp_eq_u64_e32 vcc, v[24:25], v[36:37]
	v_cndmask_b32_e32 v17, 0, v17, vcc
	v_add_u32_e32 v17, v17, v50
	v_and_b32_e32 v17, 0xfffff, v17
	v_add_co_u32_e32 v24, vcc, v17, v50
	v_add_u32_e32 v42, 6, v22
	v_addc_co_u32_e32 v25, vcc, 0, v51, vcc
	v_cmp_ne_u32_e32 vcc, 0, v42
                                        ; implicit-def: $vgpr17
	s_and_saveexec_b64 s[18:19], vcc
	s_xor_b64 s[18:19], exec, s[18:19]
; %bb.488:                              ;   in Loop: Header=BB0_264 Depth=3
	v_cmp_lt_u64_e32 vcc, s[40:41], v[24:25]
	v_add_u32_e32 v17, 7, v22
	v_cndmask_b32_e64 v22, 0, 1, vcc
	v_cndmask_b32_e32 v17, v42, v17, vcc
	v_lshrrev_b64 v[24:25], v22, v[24:25]
; %bb.489:                              ;   in Loop: Header=BB0_264 Depth=3
	s_andn2_saveexec_b64 s[18:19], s[18:19]
; %bb.490:                              ;   in Loop: Header=BB0_264 Depth=3
	v_bfe_u32 v17, v24, 23, 1
; %bb.491:                              ;   in Loop: Header=BB0_264 Depth=3
	s_or_b64 exec, exec, s[18:19]
	v_lshrrev_b64 v[22:23], 20, v[24:25]
	v_cmp_gt_i32_e32 vcc, 16, v17
	v_cndmask_b32_e32 v23, 0, v23, vcc
	v_cndmask_b32_e32 v22, 7, v22, vcc
	v_cmp_eq_u32_e32 vcc, 0, v17
	v_min_i32_e32 v17, 15, v17
	v_cmp_eq_u64_e64 s[18:19], 0, v[22:23]
	v_lshlrev_b32_e32 v17, 3, v17
	v_and_or_b32 v17, v22, 7, v17
	s_and_b64 s[18:19], vcc, s[18:19]
	v_cndmask_b32_e64 v17, v17, 0, s[18:19]
	v_or_b32_e32 v24, v17, v2
.LBB0_492:                              ;   in Loop: Header=BB0_264 Depth=3
	s_or_b64 exec, exec, s[50:51]
.LBB0_493:                              ;   in Loop: Header=BB0_264 Depth=3
	s_or_b64 exec, exec, s[48:49]
                                        ; implicit-def: $vgpr17
.LBB0_494:                              ;   in Loop: Header=BB0_264 Depth=3
	s_andn2_saveexec_b64 s[18:19], s[46:47]
; %bb.495:                              ;   in Loop: Header=BB0_264 Depth=3
	v_or_b32_sdwa v2, v17, s62 dst_sel:DWORD dst_unused:UNUSED_PAD src0_sel:BYTE_3 src1_sel:DWORD
	v_cmp_eq_u64_e32 vcc, 0, v[42:43]
	v_cndmask_b32_e32 v24, v2, v24, vcc
; %bb.496:                              ;   in Loop: Header=BB0_264 Depth=3
	s_or_b64 exec, exec, s[18:19]
	v_cmp_lt_u32_e32 vcc, s64, v16
	v_mov_b32_e32 v17, 0
	v_mov_b32_e32 v25, 0
	s_and_saveexec_b64 s[18:19], vcc
	s_cbranch_execz .LBB0_502
; %bb.497:                              ;   in Loop: Header=BB0_264 Depth=3
	v_lshrrev_b32_e32 v2, 24, v16
	v_cmp_ne_u32_e32 vcc, s61, v2
	v_bfrev_b32_e32 v25, 1
	s_and_saveexec_b64 s[46:47], vcc
	s_cbranch_execz .LBB0_501
; %bb.498:                              ;   in Loop: Header=BB0_264 Depth=3
	v_bfe_u32 v16, v16, 24, 7
	v_cmp_ne_u32_e32 vcc, s62, v16
	v_mov_b32_e32 v25, 0x7f800001
	s_and_saveexec_b64 s[48:49], vcc
	s_cbranch_execz .LBB0_500
; %bb.499:                              ;   in Loop: Header=BB0_264 Depth=3
	v_and_b32_e32 v25, 7, v2
	v_ffbh_u32_e32 v22, v25
	v_min_u32_e32 v37, 32, v22
	v_subrev_u32_e32 v22, 28, v37
	v_lshlrev_b64 v[22:23], v22, v[2:3]
	v_lshrrev_b32_e32 v36, 3, v16
	v_sub_u32_e32 v23, 29, v37
	v_and_b32_e32 v22, 7, v22
	v_cmp_gt_u32_e32 vcc, 8, v16
	v_cndmask_b32_e32 v16, v36, v23, vcc
	v_cndmask_b32_e32 v22, v25, v22, vcc
	v_lshlrev_b32_e32 v2, 24, v2
	v_lshlrev_b32_e32 v22, 20, v22
	v_and_b32_e32 v2, 0x80000000, v2
	v_lshl_add_u32 v16, v16, 23, v47
	v_or3_b32 v25, v2, v16, v22
.LBB0_500:                              ;   in Loop: Header=BB0_264 Depth=3
	s_or_b64 exec, exec, s[48:49]
.LBB0_501:                              ;   in Loop: Header=BB0_264 Depth=3
	s_or_b64 exec, exec, s[46:47]
.LBB0_502:                              ;   in Loop: Header=BB0_264 Depth=3
	s_or_b64 exec, exec, s[18:19]
	v_lshlrev_b32_e32 v2, 8, v60
	v_and_b32_e32 v2, 0xff00, v2
	v_cmp_ne_u32_e32 vcc, 0, v2
	s_and_saveexec_b64 s[18:19], vcc
	s_cbranch_execz .LBB0_508
; %bb.503:                              ;   in Loop: Header=BB0_264 Depth=3
	v_cmp_ne_u32_e32 vcc, s68, v2
	v_bfrev_b32_e32 v17, 1
	s_and_saveexec_b64 s[46:47], vcc
	s_cbranch_execz .LBB0_507
; %bb.504:                              ;   in Loop: Header=BB0_264 Depth=3
	v_bfe_u32 v16, v2, 8, 7
	v_cmp_ne_u32_e32 vcc, s62, v16
	v_mov_b32_e32 v17, 0x7f800001
	s_and_saveexec_b64 s[48:49], vcc
	s_cbranch_execz .LBB0_506
; %bb.505:                              ;   in Loop: Header=BB0_264 Depth=3
	v_lshrrev_b32_e32 v22, 8, v2
	v_and_b32_e32 v17, 7, v22
	v_ffbh_u32_e32 v23, v17
	v_min_u32_e32 v37, 32, v23
	v_subrev_u32_e32 v23, 28, v37
	v_lshlrev_b64 v[22:23], v23, v[22:23]
	v_lshrrev_b32_e32 v36, 3, v16
	v_sub_u32_e32 v23, 29, v37
	v_and_b32_e32 v22, 7, v22
	v_cmp_gt_u32_e32 vcc, 8, v16
	v_cndmask_b32_e32 v16, v36, v23, vcc
	v_cndmask_b32_e32 v17, v17, v22, vcc
	v_lshlrev_b32_e32 v2, 16, v2
	v_lshlrev_b32_e32 v17, 20, v17
	v_and_b32_e32 v2, 0x80000000, v2
	v_lshl_add_u32 v16, v16, 23, v47
	v_or3_b32 v17, v2, v16, v17
.LBB0_506:                              ;   in Loop: Header=BB0_264 Depth=3
	s_or_b64 exec, exec, s[48:49]
.LBB0_507:                              ;   in Loop: Header=BB0_264 Depth=3
	s_or_b64 exec, exec, s[46:47]
.LBB0_508:                              ;   in Loop: Header=BB0_264 Depth=3
	s_or_b64 exec, exec, s[18:19]
	v_add_f32_e32 v16, v25, v17
	v_and_b32_sdwa v2, v16, s61 dst_sel:DWORD dst_unused:UNUSED_PAD src0_sel:BYTE_3 src1_sel:DWORD
	v_and_b32_e32 v22, 0x7f800000, v16
	v_mov_b32_e32 v23, v43
	v_and_b32_e32 v42, 0x7fffff, v16
	v_or_b32_e32 v25, 0x7e, v2
	v_cmp_ne_u64_e32 vcc, s[36:37], v[22:23]
	s_and_saveexec_b64 s[18:19], vcc
	s_xor_b64 s[46:47], exec, s[18:19]
	s_cbranch_execz .LBB0_518
; %bb.509:                              ;   in Loop: Header=BB0_264 Depth=3
	v_and_b32_e32 v22, 0x7fffffff, v16
	v_mov_b32_e32 v23, v43
	v_cmp_gt_u64_e32 vcc, s[38:39], v[22:23]
	s_and_saveexec_b64 s[48:49], vcc
	s_cbranch_execz .LBB0_517
; %bb.510:                              ;   in Loop: Header=BB0_264 Depth=3
	v_cmp_ne_u32_e32 vcc, 0, v16
	v_mov_b32_e32 v25, 0
	s_and_saveexec_b64 s[50:51], vcc
	s_cbranch_execz .LBB0_516
; %bb.511:                              ;   in Loop: Header=BB0_264 Depth=3
	v_bfe_u32 v16, v16, 23, 8
	v_sub_u32_e32 v22, 0x79, v16
	v_cmp_gt_u32_e32 vcc, s63, v16
	v_cndmask_b32_e32 v22, 0, v22, vcc
	v_cmp_eq_u32_e32 vcc, 0, v16
	v_or_b32_e32 v23, 0x800000, v42
	v_cndmask_b32_e32 v22, v22, v6, vcc
	v_add_u32_e32 v17, 0xffffff81, v16
	v_cndmask_b32_e32 v42, v23, v42, vcc
	v_add_u32_e32 v16, 20, v22
	v_cndmask_b32_e32 v25, v17, v30, vcc
	v_lshlrev_b64 v[16:17], v16, -1
	v_add_u32_e32 v23, 19, v22
	v_lshrrev_b64 v[50:51], v22, v[42:43]
	v_not_b32_e32 v17, v17
	v_not_b32_e32 v16, v16
	v_lshlrev_b64 v[36:37], v23, 1
	v_lshrrev_b32_e32 v23, 23, v50
	v_and_b32_e32 v17, 0, v17
	v_and_b32_e32 v16, v42, v16
	v_add3_u32 v22, v22, v25, v23
	v_bfe_u32 v23, v50, 20, 1
	v_add_u32_e32 v23, -1, v23
	v_cmp_eq_u64_e32 vcc, v[16:17], v[36:37]
	v_cndmask_b32_e32 v16, 0, v23, vcc
	v_add_u32_e32 v16, v16, v50
	v_and_b32_e32 v16, 0xfffff, v16
	v_add_co_u32_e32 v16, vcc, v16, v50
	v_add_u32_e32 v42, 6, v22
	v_addc_co_u32_e32 v17, vcc, 0, v51, vcc
	v_cmp_ne_u32_e32 vcc, 0, v42
                                        ; implicit-def: $vgpr25
	s_and_saveexec_b64 s[18:19], vcc
	s_xor_b64 s[18:19], exec, s[18:19]
; %bb.512:                              ;   in Loop: Header=BB0_264 Depth=3
	v_add_u32_e32 v22, 7, v22
	v_cmp_lt_u64_e32 vcc, s[40:41], v[16:17]
	v_cndmask_b32_e32 v25, v42, v22, vcc
	v_cndmask_b32_e64 v22, 0, 1, vcc
	v_lshrrev_b64 v[16:17], v22, v[16:17]
; %bb.513:                              ;   in Loop: Header=BB0_264 Depth=3
	s_andn2_saveexec_b64 s[18:19], s[18:19]
; %bb.514:                              ;   in Loop: Header=BB0_264 Depth=3
	v_bfe_u32 v25, v16, 23, 1
; %bb.515:                              ;   in Loop: Header=BB0_264 Depth=3
	s_or_b64 exec, exec, s[18:19]
	v_lshrrev_b64 v[16:17], 20, v[16:17]
	v_cmp_gt_i32_e32 vcc, 16, v25
	v_cndmask_b32_e32 v17, 0, v17, vcc
	v_cndmask_b32_e32 v16, 7, v16, vcc
	v_cmp_eq_u64_e64 s[18:19], 0, v[16:17]
	v_min_i32_e32 v17, 15, v25
	v_cmp_eq_u32_e32 vcc, 0, v25
	v_lshlrev_b32_e32 v17, 3, v17
	v_and_or_b32 v16, v16, 7, v17
	s_and_b64 s[18:19], vcc, s[18:19]
	v_cndmask_b32_e64 v16, v16, 0, s[18:19]
	v_or_b32_e32 v25, v16, v2
.LBB0_516:                              ;   in Loop: Header=BB0_264 Depth=3
	s_or_b64 exec, exec, s[50:51]
.LBB0_517:                              ;   in Loop: Header=BB0_264 Depth=3
	s_or_b64 exec, exec, s[48:49]
                                        ; implicit-def: $vgpr16
.LBB0_518:                              ;   in Loop: Header=BB0_264 Depth=3
	s_andn2_saveexec_b64 s[18:19], s[46:47]
; %bb.519:                              ;   in Loop: Header=BB0_264 Depth=3
	v_or_b32_sdwa v2, v16, s62 dst_sel:DWORD dst_unused:UNUSED_PAD src0_sel:BYTE_3 src1_sel:DWORD
	v_cmp_eq_u64_e32 vcc, 0, v[42:43]
	v_cndmask_b32_e32 v25, v2, v25, vcc
; %bb.520:                              ;   in Loop: Header=BB0_264 Depth=3
	s_or_b64 exec, exec, s[18:19]
	v_cmp_ne_u16_sdwa vcc, v18, v43 src0_sel:BYTE_0 src1_sel:DWORD
	v_mov_b32_e32 v2, 0
	v_mov_b32_e32 v16, 0
	s_and_saveexec_b64 s[18:19], vcc
	s_cbranch_execz .LBB0_526
; %bb.521:                              ;   in Loop: Header=BB0_264 Depth=3
	v_cmp_ne_u16_sdwa vcc, v18, s61 src0_sel:BYTE_0 src1_sel:DWORD
	v_bfrev_b32_e32 v16, 1
	s_and_saveexec_b64 s[46:47], vcc
	s_cbranch_execz .LBB0_525
; %bb.522:                              ;   in Loop: Header=BB0_264 Depth=3
	v_and_b32_e32 v17, 0x7f, v18
	v_cmp_ne_u32_e32 vcc, s62, v17
	v_mov_b32_e32 v16, 0x7f800001
	s_and_saveexec_b64 s[48:49], vcc
	s_cbranch_execz .LBB0_524
; %bb.523:                              ;   in Loop: Header=BB0_264 Depth=3
	v_and_b32_e32 v16, 7, v18
	v_ffbh_u32_e32 v16, v16
	v_min_u32_e32 v16, 32, v16
	v_lshrrev_b32_e32 v22, 3, v17
	v_subrev_u32_e32 v23, 28, v16
	v_sub_u32_e32 v16, 29, v16
	v_cmp_gt_u32_e32 vcc, 8, v17
	v_cndmask_b32_e32 v22, v22, v16, vcc
	v_cndmask_b32_e32 v16, 0, v23, vcc
	v_lshlrev_b64 v[16:17], v16, v[18:19]
	v_lshlrev_b32_e32 v16, 20, v16
	v_lshlrev_b32_e32 v17, 24, v18
	v_and_b32_e32 v16, 0x700000, v16
	v_and_b32_e32 v17, 0x80000000, v17
	v_lshl_add_u32 v19, v22, 23, v47
	v_or3_b32 v16, v17, v19, v16
.LBB0_524:                              ;   in Loop: Header=BB0_264 Depth=3
	s_or_b64 exec, exec, s[48:49]
.LBB0_525:                              ;   in Loop: Header=BB0_264 Depth=3
	s_or_b64 exec, exec, s[46:47]
.LBB0_526:                              ;   in Loop: Header=BB0_264 Depth=3
	s_or_b64 exec, exec, s[18:19]
	v_lshlrev_b32_e32 v31, 8, v31
	v_lshlrev_b32_e32 v17, 24, v27
	v_perm_b32 v19, v26, v33, s69
	v_or3_b32 v42, v19, v17, v31
	v_cmp_ne_u16_sdwa vcc, v33, v43 src0_sel:BYTE_0 src1_sel:DWORD
	s_and_saveexec_b64 s[18:19], vcc
	s_cbranch_execz .LBB0_532
; %bb.527:                              ;   in Loop: Header=BB0_264 Depth=3
	v_cmp_ne_u16_sdwa vcc, v33, s61 src0_sel:BYTE_0 src1_sel:DWORD
	v_bfrev_b32_e32 v2, 1
	s_and_saveexec_b64 s[46:47], vcc
	s_cbranch_execz .LBB0_531
; %bb.528:                              ;   in Loop: Header=BB0_264 Depth=3
	v_and_b32_e32 v17, 0x7f, v33
	v_cmp_ne_u32_e32 vcc, s62, v17
	v_mov_b32_e32 v2, 0x7f800001
	s_and_saveexec_b64 s[48:49], vcc
	s_cbranch_execz .LBB0_530
; %bb.529:                              ;   in Loop: Header=BB0_264 Depth=3
	v_and_b32_e32 v2, 7, v33
	v_ffbh_u32_e32 v2, v2
	v_min_u32_e32 v2, 32, v2
	v_subrev_u32_e32 v22, 28, v2
	v_cmp_gt_u32_e32 vcc, 8, v17
	v_lshrrev_b32_e32 v19, 3, v17
	v_cndmask_b32_e32 v17, 0, v22, vcc
	v_sub_u32_e32 v2, 29, v2
	v_lshlrev_b64 v[22:23], v17, v[42:43]
	v_cndmask_b32_e32 v2, v19, v2, vcc
	v_lshlrev_b32_e32 v17, 20, v22
	v_lshlrev_b32_e32 v19, 24, v42
	v_and_b32_e32 v17, 0x700000, v17
	v_and_b32_e32 v19, 0x80000000, v19
	v_lshl_add_u32 v2, v2, 23, v47
	v_or3_b32 v2, v19, v2, v17
.LBB0_530:                              ;   in Loop: Header=BB0_264 Depth=3
	s_or_b64 exec, exec, s[48:49]
.LBB0_531:                              ;   in Loop: Header=BB0_264 Depth=3
	s_or_b64 exec, exec, s[46:47]
.LBB0_532:                              ;   in Loop: Header=BB0_264 Depth=3
	s_or_b64 exec, exec, s[18:19]
	v_add_f32_e32 v26, v16, v2
	v_and_b32_sdwa v2, v26, s61 dst_sel:DWORD dst_unused:UNUSED_PAD src0_sel:BYTE_3 src1_sel:DWORD
	v_and_b32_e32 v22, 0x7f800000, v26
	v_mov_b32_e32 v23, v43
	v_and_b32_e32 v16, 0x7fffff, v26
	v_mov_b32_e32 v17, v43
	v_or_b32_e32 v19, 0x7e, v2
	v_cmp_ne_u64_e32 vcc, s[36:37], v[22:23]
	s_and_saveexec_b64 s[18:19], vcc
	s_xor_b64 s[46:47], exec, s[18:19]
	s_cbranch_execz .LBB0_542
; %bb.533:                              ;   in Loop: Header=BB0_264 Depth=3
	v_and_b32_e32 v22, 0x7fffffff, v26
	v_mov_b32_e32 v23, v43
	v_cmp_gt_u64_e32 vcc, s[38:39], v[22:23]
	s_and_saveexec_b64 s[48:49], vcc
	s_cbranch_execz .LBB0_541
; %bb.534:                              ;   in Loop: Header=BB0_264 Depth=3
	v_cmp_ne_u32_e32 vcc, 0, v26
	v_mov_b32_e32 v19, 0
	s_and_saveexec_b64 s[50:51], vcc
	s_cbranch_execz .LBB0_540
; %bb.535:                              ;   in Loop: Header=BB0_264 Depth=3
	v_bfe_u32 v19, v26, 23, 8
	v_sub_u32_e32 v23, 0x79, v19
	v_cmp_gt_u32_e32 vcc, s63, v19
	v_cndmask_b32_e32 v23, 0, v23, vcc
	v_cmp_eq_u32_e32 vcc, 0, v19
	v_add_u32_e32 v22, 0xffffff81, v19
	v_cndmask_b32_e32 v27, v23, v6, vcc
	v_cndmask_b32_e32 v19, v22, v30, vcc
	v_add_u32_e32 v22, 20, v27
	v_or_b32_e32 v26, 0x800000, v16
	v_lshlrev_b64 v[22:23], v22, -1
	v_cndmask_b32_e32 v16, v26, v16, vcc
	v_not_b32_e32 v22, v22
	v_and_b32_e32 v36, v16, v22
	v_add_u32_e32 v22, 19, v27
	v_lshrrev_b64 v[16:17], v27, v[16:17]
	v_not_b32_e32 v23, v23
	v_lshlrev_b64 v[50:51], v22, 1
	v_lshrrev_b32_e32 v22, 23, v16
	v_and_b32_e32 v37, 0, v23
	v_add3_u32 v22, v27, v19, v22
	v_bfe_u32 v19, v16, 20, 1
	v_add_u32_e32 v19, -1, v19
	v_cmp_eq_u64_e32 vcc, v[36:37], v[50:51]
	v_cndmask_b32_e32 v19, 0, v19, vcc
	v_add_u32_e32 v19, v19, v16
	v_and_b32_e32 v19, 0xfffff, v19
	v_add_co_u32_e32 v16, vcc, v19, v16
	v_add_u32_e32 v26, 6, v22
	v_addc_co_u32_e32 v17, vcc, 0, v17, vcc
	v_cmp_ne_u32_e32 vcc, 0, v26
                                        ; implicit-def: $vgpr19
	s_and_saveexec_b64 s[18:19], vcc
	s_xor_b64 s[18:19], exec, s[18:19]
; %bb.536:                              ;   in Loop: Header=BB0_264 Depth=3
	v_cmp_lt_u64_e32 vcc, s[40:41], v[16:17]
	v_add_u32_e32 v19, 7, v22
	v_cndmask_b32_e64 v22, 0, 1, vcc
	v_cndmask_b32_e32 v19, v26, v19, vcc
	v_lshrrev_b64 v[16:17], v22, v[16:17]
; %bb.537:                              ;   in Loop: Header=BB0_264 Depth=3
	s_andn2_saveexec_b64 s[18:19], s[18:19]
; %bb.538:                              ;   in Loop: Header=BB0_264 Depth=3
	v_bfe_u32 v19, v16, 23, 1
; %bb.539:                              ;   in Loop: Header=BB0_264 Depth=3
	s_or_b64 exec, exec, s[18:19]
	v_lshrrev_b64 v[16:17], 20, v[16:17]
	v_cmp_gt_i32_e32 vcc, 16, v19
	v_cndmask_b32_e32 v17, 0, v17, vcc
	v_cndmask_b32_e32 v16, 7, v16, vcc
	v_cmp_eq_u64_e64 s[18:19], 0, v[16:17]
	v_min_i32_e32 v17, 15, v19
	v_cmp_eq_u32_e32 vcc, 0, v19
	v_lshlrev_b32_e32 v17, 3, v17
	v_and_or_b32 v16, v16, 7, v17
	s_and_b64 s[18:19], vcc, s[18:19]
	v_cndmask_b32_e64 v16, v16, 0, s[18:19]
	v_or_b32_e32 v19, v16, v2
.LBB0_540:                              ;   in Loop: Header=BB0_264 Depth=3
	s_or_b64 exec, exec, s[50:51]
.LBB0_541:                              ;   in Loop: Header=BB0_264 Depth=3
	s_or_b64 exec, exec, s[48:49]
                                        ; implicit-def: $vgpr26
                                        ; implicit-def: $vgpr16_vgpr17
.LBB0_542:                              ;   in Loop: Header=BB0_264 Depth=3
	s_andn2_saveexec_b64 s[18:19], s[46:47]
; %bb.543:                              ;   in Loop: Header=BB0_264 Depth=3
	v_or_b32_sdwa v2, v26, s62 dst_sel:DWORD dst_unused:UNUSED_PAD src0_sel:BYTE_3 src1_sel:DWORD
	v_cmp_eq_u64_e32 vcc, 0, v[16:17]
	v_cndmask_b32_e32 v19, v2, v19, vcc
; %bb.544:                              ;   in Loop: Header=BB0_264 Depth=3
	s_or_b64 exec, exec, s[18:19]
	v_lshrrev_b16_e32 v2, 8, v18
	v_cmp_ne_u16_e32 vcc, 0, v2
	v_mov_b32_e32 v16, 0
	v_mov_b32_e32 v17, 0
	s_and_saveexec_b64 s[18:19], vcc
	s_cbranch_execz .LBB0_550
; %bb.545:                              ;   in Loop: Header=BB0_264 Depth=3
	v_cmp_ne_u16_e32 vcc, s61, v2
	v_bfrev_b32_e32 v17, 1
	s_and_saveexec_b64 s[46:47], vcc
	s_cbranch_execz .LBB0_549
; %bb.546:                              ;   in Loop: Header=BB0_264 Depth=3
	v_and_b32_e32 v22, 0x7f, v2
	v_cmp_ne_u32_e32 vcc, s62, v22
	v_mov_b32_e32 v17, 0x7f800001
	s_and_saveexec_b64 s[48:49], vcc
	s_cbranch_execz .LBB0_548
; %bb.547:                              ;   in Loop: Header=BB0_264 Depth=3
	v_and_b32_e32 v17, 7, v2
	v_ffbh_u32_e32 v26, v17
	v_min_u32_e32 v33, 32, v26
	v_subrev_u32_e32 v26, 28, v33
	v_lshlrev_b64 v[26:27], v26, v[2:3]
	v_lshrrev_b32_e32 v23, 3, v22
	v_sub_u32_e32 v2, 29, v33
	v_and_b32_e32 v26, 7, v26
	v_cmp_gt_u32_e32 vcc, 8, v22
	v_cndmask_b32_e32 v2, v23, v2, vcc
	v_cndmask_b32_e32 v17, v17, v26, vcc
	v_lshlrev_b32_e32 v22, 16, v18
	v_lshlrev_b32_e32 v17, 20, v17
	v_and_b32_e32 v22, 0x80000000, v22
	v_lshl_add_u32 v2, v2, 23, v47
	v_or3_b32 v17, v22, v2, v17
.LBB0_548:                              ;   in Loop: Header=BB0_264 Depth=3
	s_or_b64 exec, exec, s[48:49]
.LBB0_549:                              ;   in Loop: Header=BB0_264 Depth=3
	s_or_b64 exec, exec, s[46:47]
.LBB0_550:                              ;   in Loop: Header=BB0_264 Depth=3
	s_or_b64 exec, exec, s[18:19]
	v_lshrrev_b16_e32 v2, 8, v31
	v_cmp_ne_u16_e32 vcc, 0, v2
	s_and_saveexec_b64 s[18:19], vcc
	s_cbranch_execz .LBB0_556
; %bb.551:                              ;   in Loop: Header=BB0_264 Depth=3
	v_cmp_ne_u16_e32 vcc, s61, v2
	v_bfrev_b32_e32 v16, 1
	s_and_saveexec_b64 s[46:47], vcc
	s_cbranch_execz .LBB0_555
; %bb.552:                              ;   in Loop: Header=BB0_264 Depth=3
	v_and_b32_e32 v22, 0x7f, v2
	v_cmp_ne_u32_e32 vcc, s62, v22
	v_mov_b32_e32 v16, 0x7f800001
	s_and_saveexec_b64 s[48:49], vcc
	s_cbranch_execz .LBB0_554
; %bb.553:                              ;   in Loop: Header=BB0_264 Depth=3
	v_and_b32_e32 v16, 7, v2
	v_ffbh_u32_e32 v26, v16
	v_min_u32_e32 v33, 32, v26
	v_subrev_u32_e32 v26, 28, v33
	v_lshlrev_b64 v[26:27], v26, v[2:3]
	v_lshrrev_b32_e32 v23, 3, v22
	v_sub_u32_e32 v2, 29, v33
	v_and_b32_e32 v26, 7, v26
	v_cmp_gt_u32_e32 vcc, 8, v22
	v_cndmask_b32_e32 v2, v23, v2, vcc
	v_cndmask_b32_e32 v16, v16, v26, vcc
	v_lshlrev_b32_e32 v22, 16, v31
	v_lshlrev_b32_e32 v16, 20, v16
	v_and_b32_e32 v22, 0x80000000, v22
	v_lshl_add_u32 v2, v2, 23, v47
	v_or3_b32 v16, v22, v2, v16
.LBB0_554:                              ;   in Loop: Header=BB0_264 Depth=3
	s_or_b64 exec, exec, s[48:49]
.LBB0_555:                              ;   in Loop: Header=BB0_264 Depth=3
	s_or_b64 exec, exec, s[46:47]
.LBB0_556:                              ;   in Loop: Header=BB0_264 Depth=3
	s_or_b64 exec, exec, s[18:19]
	v_add_f32_e32 v27, v17, v16
	v_and_b32_sdwa v2, v27, s61 dst_sel:DWORD dst_unused:UNUSED_PAD src0_sel:BYTE_3 src1_sel:DWORD
	v_and_b32_e32 v22, 0x7f800000, v27
	v_mov_b32_e32 v23, v43
	v_and_b32_e32 v16, 0x7fffff, v27
	v_mov_b32_e32 v17, v43
	v_or_b32_e32 v26, 0x7e, v2
	v_cmp_ne_u64_e32 vcc, s[36:37], v[22:23]
	s_and_saveexec_b64 s[18:19], vcc
	s_xor_b64 s[46:47], exec, s[18:19]
	s_cbranch_execz .LBB0_566
; %bb.557:                              ;   in Loop: Header=BB0_264 Depth=3
	v_and_b32_e32 v22, 0x7fffffff, v27
	v_mov_b32_e32 v23, v43
	v_cmp_gt_u64_e32 vcc, s[38:39], v[22:23]
	s_and_saveexec_b64 s[48:49], vcc
	s_cbranch_execz .LBB0_565
; %bb.558:                              ;   in Loop: Header=BB0_264 Depth=3
	v_cmp_ne_u32_e32 vcc, 0, v27
	v_mov_b32_e32 v26, 0
	s_and_saveexec_b64 s[50:51], vcc
	s_cbranch_execz .LBB0_564
; %bb.559:                              ;   in Loop: Header=BB0_264 Depth=3
	v_bfe_u32 v22, v27, 23, 8
	v_sub_u32_e32 v26, 0x79, v22
	v_cmp_gt_u32_e32 vcc, s63, v22
	v_cndmask_b32_e32 v26, 0, v26, vcc
	v_cmp_eq_u32_e32 vcc, 0, v22
	v_cndmask_b32_e32 v26, v26, v6, vcc
	v_add_u32_e32 v23, 0xffffff81, v22
	v_add_u32_e32 v22, 20, v26
	v_or_b32_e32 v27, 0x800000, v16
	v_cndmask_b32_e32 v31, v23, v30, vcc
	v_lshlrev_b64 v[22:23], v22, -1
	v_cndmask_b32_e32 v16, v27, v16, vcc
	v_not_b32_e32 v22, v22
	v_not_b32_e32 v23, v23
	v_and_b32_e32 v36, v16, v22
	v_add_u32_e32 v22, 19, v26
	v_lshrrev_b64 v[16:17], v26, v[16:17]
	v_and_b32_e32 v37, 0, v23
	v_lshlrev_b64 v[50:51], v22, 1
	v_bfe_u32 v23, v16, 20, 1
	v_add_u32_e32 v23, -1, v23
	v_cmp_eq_u64_e32 vcc, v[36:37], v[50:51]
	v_cndmask_b32_e32 v23, 0, v23, vcc
	v_add_u32_e32 v23, v23, v16
	v_lshrrev_b32_e32 v22, 23, v16
	v_and_b32_e32 v23, 0xfffff, v23
	v_add3_u32 v22, v26, v31, v22
	v_add_co_u32_e32 v16, vcc, v23, v16
	v_add_u32_e32 v27, 6, v22
	v_addc_co_u32_e32 v17, vcc, 0, v17, vcc
	v_cmp_ne_u32_e32 vcc, 0, v27
                                        ; implicit-def: $vgpr26
	s_and_saveexec_b64 s[18:19], vcc
	s_xor_b64 s[18:19], exec, s[18:19]
; %bb.560:                              ;   in Loop: Header=BB0_264 Depth=3
	v_add_u32_e32 v22, 7, v22
	v_cmp_lt_u64_e32 vcc, s[40:41], v[16:17]
	v_cndmask_b32_e32 v26, v27, v22, vcc
	v_cndmask_b32_e64 v22, 0, 1, vcc
	v_lshrrev_b64 v[16:17], v22, v[16:17]
; %bb.561:                              ;   in Loop: Header=BB0_264 Depth=3
	s_andn2_saveexec_b64 s[18:19], s[18:19]
; %bb.562:                              ;   in Loop: Header=BB0_264 Depth=3
	v_bfe_u32 v26, v16, 23, 1
; %bb.563:                              ;   in Loop: Header=BB0_264 Depth=3
	s_or_b64 exec, exec, s[18:19]
	v_lshrrev_b64 v[16:17], 20, v[16:17]
	v_cmp_gt_i32_e32 vcc, 16, v26
	v_cndmask_b32_e32 v17, 0, v17, vcc
	v_cndmask_b32_e32 v16, 7, v16, vcc
	v_cmp_eq_u64_e64 s[18:19], 0, v[16:17]
	v_min_i32_e32 v17, 15, v26
	v_cmp_eq_u32_e32 vcc, 0, v26
	v_lshlrev_b32_e32 v17, 3, v17
	v_and_or_b32 v16, v16, 7, v17
	s_and_b64 s[18:19], vcc, s[18:19]
	v_cndmask_b32_e64 v16, v16, 0, s[18:19]
	v_or_b32_e32 v26, v16, v2
.LBB0_564:                              ;   in Loop: Header=BB0_264 Depth=3
	s_or_b64 exec, exec, s[50:51]
.LBB0_565:                              ;   in Loop: Header=BB0_264 Depth=3
	s_or_b64 exec, exec, s[48:49]
                                        ; implicit-def: $vgpr27
                                        ; implicit-def: $vgpr16_vgpr17
.LBB0_566:                              ;   in Loop: Header=BB0_264 Depth=3
	s_andn2_saveexec_b64 s[18:19], s[46:47]
; %bb.567:                              ;   in Loop: Header=BB0_264 Depth=3
	v_or_b32_sdwa v2, v27, s62 dst_sel:DWORD dst_unused:UNUSED_PAD src0_sel:BYTE_3 src1_sel:DWORD
	v_cmp_eq_u64_e32 vcc, 0, v[16:17]
	v_cndmask_b32_e32 v26, v2, v26, vcc
; %bb.568:                              ;   in Loop: Header=BB0_264 Depth=3
	s_or_b64 exec, exec, s[18:19]
	v_lshrrev_b32_e32 v2, 16, v18
	v_cmp_ne_u16_sdwa vcc, v2, v43 src0_sel:BYTE_0 src1_sel:DWORD
	v_mov_b32_e32 v16, 0
	v_mov_b32_e32 v17, 0
	s_and_saveexec_b64 s[18:19], vcc
	s_cbranch_execz .LBB0_574
; %bb.569:                              ;   in Loop: Header=BB0_264 Depth=3
	v_cmp_ne_u16_sdwa vcc, v2, s61 src0_sel:BYTE_0 src1_sel:DWORD
	v_bfrev_b32_e32 v17, 1
	s_and_saveexec_b64 s[46:47], vcc
	s_cbranch_execz .LBB0_573
; %bb.570:                              ;   in Loop: Header=BB0_264 Depth=3
	v_bfe_u32 v22, v18, 16, 7
	v_cmp_ne_u32_e32 vcc, s62, v22
	v_mov_b32_e32 v17, 0x7f800001
	s_and_saveexec_b64 s[48:49], vcc
	s_cbranch_execz .LBB0_572
; %bb.571:                              ;   in Loop: Header=BB0_264 Depth=3
	v_and_b32_e32 v17, 7, v2
	v_ffbh_u32_e32 v27, v17
	v_min_u32_e32 v27, 32, v27
	v_subrev_u32_e32 v31, 28, v27
	v_lshlrev_b64 v[36:37], v31, v[2:3]
	v_lshrrev_b32_e32 v23, 3, v22
	v_sub_u32_e32 v27, 29, v27
	v_and_b32_e32 v31, 7, v36
	v_cmp_gt_u32_e32 vcc, 8, v22
	v_cndmask_b32_e32 v22, v23, v27, vcc
	v_cndmask_b32_e32 v17, v17, v31, vcc
	v_lshlrev_b32_e32 v2, 24, v2
	v_lshlrev_b32_e32 v17, 20, v17
	v_and_b32_e32 v2, 0x80000000, v2
	v_lshl_add_u32 v22, v22, 23, v47
	v_or3_b32 v17, v2, v22, v17
.LBB0_572:                              ;   in Loop: Header=BB0_264 Depth=3
	s_or_b64 exec, exec, s[48:49]
.LBB0_573:                              ;   in Loop: Header=BB0_264 Depth=3
	s_or_b64 exec, exec, s[46:47]
.LBB0_574:                              ;   in Loop: Header=BB0_264 Depth=3
	s_or_b64 exec, exec, s[18:19]
	v_lshrrev_b32_e32 v2, 16, v42
	v_cmp_ne_u16_sdwa vcc, v2, v43 src0_sel:BYTE_0 src1_sel:DWORD
	s_and_saveexec_b64 s[18:19], vcc
	s_cbranch_execz .LBB0_580
; %bb.575:                              ;   in Loop: Header=BB0_264 Depth=3
	v_cmp_ne_u16_sdwa vcc, v2, s61 src0_sel:BYTE_0 src1_sel:DWORD
	v_bfrev_b32_e32 v16, 1
	s_and_saveexec_b64 s[46:47], vcc
	s_cbranch_execz .LBB0_579
; %bb.576:                              ;   in Loop: Header=BB0_264 Depth=3
	v_bfe_u32 v22, v42, 16, 7
	v_cmp_ne_u32_e32 vcc, s62, v22
	v_mov_b32_e32 v16, 0x7f800001
	s_and_saveexec_b64 s[48:49], vcc
	s_cbranch_execz .LBB0_578
; %bb.577:                              ;   in Loop: Header=BB0_264 Depth=3
	v_and_b32_e32 v16, 7, v2
	v_ffbh_u32_e32 v27, v16
	v_min_u32_e32 v27, 32, v27
	v_subrev_u32_e32 v31, 28, v27
	v_lshlrev_b64 v[36:37], v31, v[2:3]
	v_lshrrev_b32_e32 v23, 3, v22
	v_sub_u32_e32 v2, 29, v27
	v_and_b32_e32 v27, 7, v36
	v_cmp_gt_u32_e32 vcc, 8, v22
	v_cndmask_b32_e32 v2, v23, v2, vcc
	v_cndmask_b32_e32 v16, v16, v27, vcc
	v_lshlrev_b32_e32 v22, 8, v42
	v_lshlrev_b32_e32 v16, 20, v16
	v_and_b32_e32 v22, 0x80000000, v22
	v_lshl_add_u32 v2, v2, 23, v47
	v_or3_b32 v16, v22, v2, v16
.LBB0_578:                              ;   in Loop: Header=BB0_264 Depth=3
	s_or_b64 exec, exec, s[48:49]
.LBB0_579:                              ;   in Loop: Header=BB0_264 Depth=3
	s_or_b64 exec, exec, s[46:47]
.LBB0_580:                              ;   in Loop: Header=BB0_264 Depth=3
	s_or_b64 exec, exec, s[18:19]
	v_add_f32_e32 v31, v17, v16
	v_and_b32_sdwa v2, v31, s61 dst_sel:DWORD dst_unused:UNUSED_PAD src0_sel:BYTE_3 src1_sel:DWORD
	v_and_b32_e32 v22, 0x7f800000, v31
	v_mov_b32_e32 v23, v43
	v_and_b32_e32 v16, 0x7fffff, v31
	v_mov_b32_e32 v17, v43
	v_or_b32_e32 v27, 0x7e, v2
	v_cmp_ne_u64_e32 vcc, s[36:37], v[22:23]
	s_and_saveexec_b64 s[18:19], vcc
	s_xor_b64 s[46:47], exec, s[18:19]
	s_cbranch_execz .LBB0_590
; %bb.581:                              ;   in Loop: Header=BB0_264 Depth=3
	v_and_b32_e32 v22, 0x7fffffff, v31
	v_mov_b32_e32 v23, v43
	v_cmp_gt_u64_e32 vcc, s[38:39], v[22:23]
	s_and_saveexec_b64 s[48:49], vcc
	s_cbranch_execz .LBB0_589
; %bb.582:                              ;   in Loop: Header=BB0_264 Depth=3
	v_cmp_ne_u32_e32 vcc, 0, v31
	v_mov_b32_e32 v27, 0
	s_and_saveexec_b64 s[50:51], vcc
	s_cbranch_execz .LBB0_588
; %bb.583:                              ;   in Loop: Header=BB0_264 Depth=3
	v_bfe_u32 v22, v31, 23, 8
	v_sub_u32_e32 v27, 0x79, v22
	v_cmp_gt_u32_e32 vcc, s63, v22
	v_cndmask_b32_e32 v27, 0, v27, vcc
	v_cmp_eq_u32_e32 vcc, 0, v22
	v_cndmask_b32_e32 v27, v27, v6, vcc
	v_add_u32_e32 v23, 0xffffff81, v22
	v_add_u32_e32 v22, 20, v27
	v_or_b32_e32 v31, 0x800000, v16
	v_cndmask_b32_e32 v33, v23, v30, vcc
	v_lshlrev_b64 v[22:23], v22, -1
	v_cndmask_b32_e32 v16, v31, v16, vcc
	v_not_b32_e32 v22, v22
	v_not_b32_e32 v23, v23
	v_and_b32_e32 v36, v16, v22
	v_add_u32_e32 v22, 19, v27
	v_lshrrev_b64 v[16:17], v27, v[16:17]
	v_and_b32_e32 v37, 0, v23
	v_lshlrev_b64 v[50:51], v22, 1
	v_bfe_u32 v23, v16, 20, 1
	v_add_u32_e32 v23, -1, v23
	v_cmp_eq_u64_e32 vcc, v[36:37], v[50:51]
	v_cndmask_b32_e32 v23, 0, v23, vcc
	v_add_u32_e32 v23, v23, v16
	v_lshrrev_b32_e32 v22, 23, v16
	v_and_b32_e32 v23, 0xfffff, v23
	v_add3_u32 v22, v27, v33, v22
	v_add_co_u32_e32 v16, vcc, v23, v16
	v_add_u32_e32 v31, 6, v22
	v_addc_co_u32_e32 v17, vcc, 0, v17, vcc
	v_cmp_ne_u32_e32 vcc, 0, v31
                                        ; implicit-def: $vgpr27
	s_and_saveexec_b64 s[18:19], vcc
	s_xor_b64 s[18:19], exec, s[18:19]
; %bb.584:                              ;   in Loop: Header=BB0_264 Depth=3
	v_add_u32_e32 v22, 7, v22
	v_cmp_lt_u64_e32 vcc, s[40:41], v[16:17]
	v_cndmask_b32_e32 v27, v31, v22, vcc
	v_cndmask_b32_e64 v22, 0, 1, vcc
	v_lshrrev_b64 v[16:17], v22, v[16:17]
; %bb.585:                              ;   in Loop: Header=BB0_264 Depth=3
	s_andn2_saveexec_b64 s[18:19], s[18:19]
; %bb.586:                              ;   in Loop: Header=BB0_264 Depth=3
	v_bfe_u32 v27, v16, 23, 1
; %bb.587:                              ;   in Loop: Header=BB0_264 Depth=3
	s_or_b64 exec, exec, s[18:19]
	v_lshrrev_b64 v[16:17], 20, v[16:17]
	v_cmp_gt_i32_e32 vcc, 16, v27
	v_cndmask_b32_e32 v17, 0, v17, vcc
	v_cndmask_b32_e32 v16, 7, v16, vcc
	v_cmp_eq_u64_e64 s[18:19], 0, v[16:17]
	v_min_i32_e32 v17, 15, v27
	v_lshlrev_b32_e32 v17, 3, v17
	v_cmp_eq_u32_e32 vcc, 0, v27
	v_and_b32_e32 v17, 0xf8, v17
	v_and_or_b32 v16, v16, 7, v17
	s_and_b64 s[18:19], vcc, s[18:19]
	v_cndmask_b32_e64 v16, v16, 0, s[18:19]
	v_or_b32_e32 v27, v16, v2
.LBB0_588:                              ;   in Loop: Header=BB0_264 Depth=3
	s_or_b64 exec, exec, s[50:51]
.LBB0_589:                              ;   in Loop: Header=BB0_264 Depth=3
	s_or_b64 exec, exec, s[48:49]
                                        ; implicit-def: $vgpr31
                                        ; implicit-def: $vgpr16_vgpr17
.LBB0_590:                              ;   in Loop: Header=BB0_264 Depth=3
	s_andn2_saveexec_b64 s[18:19], s[46:47]
; %bb.591:                              ;   in Loop: Header=BB0_264 Depth=3
	v_or_b32_sdwa v2, v31, s62 dst_sel:DWORD dst_unused:UNUSED_PAD src0_sel:BYTE_3 src1_sel:DWORD
	v_cmp_eq_u64_e32 vcc, 0, v[16:17]
	v_cndmask_b32_e32 v27, v2, v27, vcc
; %bb.592:                              ;   in Loop: Header=BB0_264 Depth=3
	s_or_b64 exec, exec, s[18:19]
	v_and_b32_e32 v16, 0xff000000, v18
	v_mov_b32_e32 v17, v43
	v_cmp_ne_u64_e32 vcc, 0, v[16:17]
	v_mov_b32_e32 v16, 0
	v_mov_b32_e32 v17, 0
	s_and_saveexec_b64 s[18:19], vcc
	s_cbranch_execz .LBB0_598
; %bb.593:                              ;   in Loop: Header=BB0_264 Depth=3
	v_lshrrev_b32_e32 v2, 24, v18
	v_cmp_ne_u32_e32 vcc, s61, v2
	v_bfrev_b32_e32 v17, 1
	s_and_saveexec_b64 s[46:47], vcc
	s_cbranch_execz .LBB0_597
; %bb.594:                              ;   in Loop: Header=BB0_264 Depth=3
	v_bfe_u32 v18, v18, 24, 7
	v_cmp_ne_u32_e32 vcc, s62, v18
	v_mov_b32_e32 v17, 0x7f800001
	s_and_saveexec_b64 s[48:49], vcc
	s_cbranch_execz .LBB0_596
; %bb.595:                              ;   in Loop: Header=BB0_264 Depth=3
	v_and_b32_e32 v17, 7, v2
	v_ffbh_u32_e32 v22, v17
	v_min_u32_e32 v33, 32, v22
	v_subrev_u32_e32 v22, 28, v33
	v_lshlrev_b64 v[22:23], v22, v[2:3]
	v_lshrrev_b32_e32 v31, 3, v18
	v_sub_u32_e32 v23, 29, v33
	v_and_b32_e32 v22, 7, v22
	v_cmp_gt_u32_e32 vcc, 8, v18
	v_cndmask_b32_e32 v18, v31, v23, vcc
	v_cndmask_b32_e32 v17, v17, v22, vcc
	v_lshlrev_b32_e32 v2, 24, v2
	v_lshlrev_b32_e32 v17, 20, v17
	v_and_b32_e32 v2, 0x80000000, v2
	v_lshl_add_u32 v18, v18, 23, v47
	v_or3_b32 v17, v2, v18, v17
.LBB0_596:                              ;   in Loop: Header=BB0_264 Depth=3
	s_or_b64 exec, exec, s[48:49]
.LBB0_597:                              ;   in Loop: Header=BB0_264 Depth=3
	s_or_b64 exec, exec, s[46:47]
.LBB0_598:                              ;   in Loop: Header=BB0_264 Depth=3
	s_or_b64 exec, exec, s[18:19]
	v_cmp_lt_u32_e32 vcc, s64, v42
	s_and_saveexec_b64 s[18:19], vcc
	s_cbranch_execz .LBB0_604
; %bb.599:                              ;   in Loop: Header=BB0_264 Depth=3
	v_lshrrev_b32_e32 v2, 24, v42
	v_cmp_ne_u32_sdwa vcc, v42, s61 src0_sel:BYTE_3 src1_sel:DWORD
	v_bfrev_b32_e32 v16, 1
	s_and_saveexec_b64 s[46:47], vcc
	s_cbranch_execz .LBB0_603
; %bb.600:                              ;   in Loop: Header=BB0_264 Depth=3
	v_bfe_u32 v18, v42, 24, 7
	v_cmp_ne_u32_e32 vcc, s62, v18
	v_mov_b32_e32 v16, 0x7f800001
	s_and_saveexec_b64 s[48:49], vcc
	s_cbranch_execz .LBB0_602
; %bb.601:                              ;   in Loop: Header=BB0_264 Depth=3
	v_and_b32_e32 v16, 7, v2
	v_ffbh_u32_e32 v22, v16
	v_min_u32_e32 v33, 32, v22
	v_subrev_u32_e32 v22, 28, v33
	v_lshlrev_b64 v[22:23], v22, v[2:3]
	v_lshrrev_b32_e32 v31, 3, v18
	v_sub_u32_e32 v2, 29, v33
	v_and_b32_e32 v22, 7, v22
	v_cmp_gt_u32_e32 vcc, 8, v18
	v_cndmask_b32_e32 v2, v31, v2, vcc
	v_cndmask_b32_e32 v16, v16, v22, vcc
	v_lshlrev_b32_sdwa v18, v7, v42 dst_sel:DWORD dst_unused:UNUSED_PAD src0_sel:DWORD src1_sel:BYTE_3
	v_lshlrev_b32_e32 v16, 20, v16
	v_and_b32_e32 v18, 0x80000000, v18
	v_lshl_add_u32 v2, v2, 23, v47
	v_or3_b32 v16, v18, v2, v16
.LBB0_602:                              ;   in Loop: Header=BB0_264 Depth=3
	s_or_b64 exec, exec, s[48:49]
.LBB0_603:                              ;   in Loop: Header=BB0_264 Depth=3
	s_or_b64 exec, exec, s[46:47]
.LBB0_604:                              ;   in Loop: Header=BB0_264 Depth=3
	s_or_b64 exec, exec, s[18:19]
	v_add_f32_e32 v17, v17, v16
	v_and_b32_sdwa v2, v17, s61 dst_sel:DWORD dst_unused:UNUSED_PAD src0_sel:BYTE_3 src1_sel:DWORD
	v_and_b32_e32 v22, 0x7f800000, v17
	v_mov_b32_e32 v23, v43
	v_and_b32_e32 v42, 0x7fffff, v17
	v_or_b32_e32 v16, 0x7e, v2
	v_cmp_ne_u64_e32 vcc, s[36:37], v[22:23]
	s_and_saveexec_b64 s[18:19], vcc
	s_xor_b64 s[46:47], exec, s[18:19]
	s_cbranch_execz .LBB0_614
; %bb.605:                              ;   in Loop: Header=BB0_264 Depth=3
	v_and_b32_e32 v22, 0x7fffffff, v17
	v_mov_b32_e32 v23, v43
	v_cmp_gt_u64_e32 vcc, s[38:39], v[22:23]
	s_and_saveexec_b64 s[48:49], vcc
	s_cbranch_execz .LBB0_613
; %bb.606:                              ;   in Loop: Header=BB0_264 Depth=3
	v_cmp_ne_u32_e32 vcc, 0, v17
	v_mov_b32_e32 v16, 0
	s_and_saveexec_b64 s[50:51], vcc
	s_cbranch_execz .LBB0_612
; %bb.607:                              ;   in Loop: Header=BB0_264 Depth=3
	v_bfe_u32 v16, v17, 23, 8
	v_sub_u32_e32 v18, 0x79, v16
	v_cmp_gt_u32_e32 vcc, s63, v16
	v_cndmask_b32_e32 v18, 0, v18, vcc
	v_cmp_eq_u32_e32 vcc, 0, v16
	v_or_b32_e32 v22, 0x800000, v42
	v_cndmask_b32_e32 v18, v18, v6, vcc
	v_add_u32_e32 v17, 0xffffff81, v16
	v_cndmask_b32_e32 v42, v22, v42, vcc
	v_add_u32_e32 v16, 20, v18
	v_cndmask_b32_e32 v23, v17, v30, vcc
	v_lshlrev_b64 v[16:17], v16, -1
	v_add_u32_e32 v22, 19, v18
	v_lshrrev_b64 v[50:51], v18, v[42:43]
	v_not_b32_e32 v17, v17
	v_not_b32_e32 v16, v16
	v_lshlrev_b64 v[36:37], v22, 1
	v_lshrrev_b32_e32 v22, 23, v50
	v_and_b32_e32 v17, 0, v17
	v_and_b32_e32 v16, v42, v16
	v_add3_u32 v22, v18, v23, v22
	v_bfe_u32 v18, v50, 20, 1
	v_add_u32_e32 v18, -1, v18
	v_cmp_eq_u64_e32 vcc, v[16:17], v[36:37]
	v_cndmask_b32_e32 v16, 0, v18, vcc
	v_add_u32_e32 v16, v16, v50
	v_and_b32_e32 v16, 0xfffff, v16
	v_add_co_u32_e32 v16, vcc, v16, v50
	v_add_u32_e32 v31, 6, v22
	v_addc_co_u32_e32 v17, vcc, 0, v51, vcc
	v_cmp_ne_u32_e32 vcc, 0, v31
                                        ; implicit-def: $vgpr18
	s_and_saveexec_b64 s[18:19], vcc
	s_xor_b64 s[18:19], exec, s[18:19]
; %bb.608:                              ;   in Loop: Header=BB0_264 Depth=3
	v_cmp_lt_u64_e32 vcc, s[40:41], v[16:17]
	v_add_u32_e32 v18, 7, v22
	v_cndmask_b32_e64 v22, 0, 1, vcc
	v_cndmask_b32_e32 v18, v31, v18, vcc
	v_lshrrev_b64 v[16:17], v22, v[16:17]
; %bb.609:                              ;   in Loop: Header=BB0_264 Depth=3
	s_andn2_saveexec_b64 s[18:19], s[18:19]
; %bb.610:                              ;   in Loop: Header=BB0_264 Depth=3
	v_bfe_u32 v18, v16, 23, 1
; %bb.611:                              ;   in Loop: Header=BB0_264 Depth=3
	s_or_b64 exec, exec, s[18:19]
	v_lshrrev_b64 v[16:17], 20, v[16:17]
	v_cmp_gt_i32_e32 vcc, 16, v18
	v_cndmask_b32_e32 v17, 0, v17, vcc
	v_cndmask_b32_e32 v16, 7, v16, vcc
	v_cmp_eq_u64_e64 s[18:19], 0, v[16:17]
	v_min_i32_e32 v17, 15, v18
	v_lshlrev_b32_e32 v17, 3, v17
	v_cmp_eq_u32_e32 vcc, 0, v18
	v_and_b32_e32 v17, 0xf8, v17
	v_and_or_b32 v16, v16, 7, v17
	s_and_b64 s[18:19], vcc, s[18:19]
	v_cndmask_b32_e64 v16, v16, 0, s[18:19]
	v_or_b32_e32 v16, v16, v2
.LBB0_612:                              ;   in Loop: Header=BB0_264 Depth=3
	s_or_b64 exec, exec, s[50:51]
.LBB0_613:                              ;   in Loop: Header=BB0_264 Depth=3
	s_or_b64 exec, exec, s[48:49]
                                        ; implicit-def: $vgpr17
.LBB0_614:                              ;   in Loop: Header=BB0_264 Depth=3
	s_andn2_saveexec_b64 s[18:19], s[46:47]
	s_cbranch_execz .LBB0_263
; %bb.615:                              ;   in Loop: Header=BB0_264 Depth=3
	v_or_b32_sdwa v2, v17, s62 dst_sel:DWORD dst_unused:UNUSED_PAD src0_sel:BYTE_3 src1_sel:DWORD
	v_cmp_eq_u64_e32 vcc, 0, v[42:43]
	v_cndmask_b32_e32 v16, v2, v16, vcc
	s_branch .LBB0_263
.LBB0_616:                              ;   in Loop: Header=BB0_220 Depth=2
	s_or_b64 exec, exec, s[44:45]
	v_accvgpr_read_b32 v8, a44
	v_accvgpr_read_b32 v9, a45
	s_or_b64 exec, exec, s[42:43]
	s_and_saveexec_b64 s[18:19], s[10:11]
	s_cbranch_execz .LBB0_224
.LBB0_617:                              ;   in Loop: Header=BB0_220 Depth=2
	s_and_saveexec_b64 vcc, s[28:29]
	s_xor_b64 s[42:43], exec, vcc
	s_cbranch_execz .LBB0_632
; %bb.618:                              ;   in Loop: Header=BB0_220 Depth=2
	s_and_saveexec_b64 s[44:45], s[12:13]
	s_cbranch_execz .LBB0_631
; %bb.619:                              ;   in Loop: Header=BB0_220 Depth=2
	s_mov_b64 s[48:49], exec
	v_mbcnt_lo_u32_b32 v1, s48, 0
	v_mbcnt_hi_u32_b32 v1, s49, v1
	v_cmp_eq_u32_e32 vcc, 0, v1
	s_waitcnt vmcnt(0) lgkmcnt(0)
	buffer_wbinvl1_vol
	s_and_saveexec_b64 s[46:47], vcc
	s_cbranch_execz .LBB0_621
; %bb.620:                              ;   in Loop: Header=BB0_220 Depth=2
	s_bcnt1_i32_b64 vcc_lo, s[48:49]
	v_mov_b32_e32 v42, vcc_lo
	ds_add_u64 v0, v[42:43]
	s_trap 2
.LBB0_621:                              ;   in Loop: Header=BB0_220 Depth=2
	s_or_b64 exec, exec, s[46:47]
	s_trap 2
	ds_read_b64 v[2:3], v0
	v_accvgpr_read_b32 v4, a32
	v_add_co_u32_e32 v54, vcc, v54, v4
	v_accvgpr_read_b32 v1, a29
	v_addc_co_u32_e32 v55, vcc, v55, v1, vcc
	s_waitcnt lgkmcnt(0)
	v_cmp_lt_u64_e32 vcc, v[2:3], v[54:55]
	s_and_saveexec_b64 s[46:47], vcc
	s_cbranch_execz .LBB0_630
; %bb.622:                              ;   in Loop: Header=BB0_220 Depth=2
	s_mov_b32 s71, 0
	s_mov_b64 s[48:49], 0
                                        ; implicit-def: $sgpr50_sgpr51
                                        ; implicit-def: $sgpr52_sgpr53
	s_branch .LBB0_624
.LBB0_623:                              ;   in Loop: Header=BB0_624 Depth=3
	s_or_b64 exec, exec, s[56:57]
	s_and_b64 vcc, exec, vcc
	s_or_b64 s[48:49], vcc, s[48:49]
	s_andn2_b64 vcc, s[50:51], exec
	s_and_b64 s[50:51], s[52:53], exec
	s_or_b64 s[50:51], vcc, s[50:51]
	s_andn2_b64 exec, exec, s[48:49]
	s_cbranch_execz .LBB0_628
.LBB0_624:                              ;   Parent Loop BB0_27 Depth=1
                                        ;     Parent Loop BB0_220 Depth=2
                                        ; =>    This Inner Loop Header: Depth=3
	s_add_i32 s71, s71, 1
	s_cmpk_lg_i32 s71, 0x2710
	s_cselect_b64 s[54:55], -1, 0
	s_and_b64 vcc, exec, s[54:55]
                                        ; implicit-def: $sgpr56_sgpr57
	s_cbranch_vccnz .LBB0_626
; %bb.625:                              ;   in Loop: Header=BB0_624 Depth=3
	s_trap 2
	ds_read_b64 v[2:3], v0
	s_andn2_b64 s[54:55], s[54:55], exec
	s_mov_b32 s71, 0
	s_mov_b64 s[56:57], -1
	s_waitcnt lgkmcnt(0)
	flat_load_dword v1, v[2:3] glc
	s_waitcnt vmcnt(0) lgkmcnt(0)
	buffer_invl2
	buffer_wbinvl1_vol
	v_cmp_eq_u32_e32 vcc, 0, v1
	s_and_b64 vcc, vcc, exec
	s_or_b64 s[54:55], s[54:55], vcc
.LBB0_626:                              ;   in Loop: Header=BB0_624 Depth=3
	s_andn2_b64 s[52:53], s[52:53], exec
	s_and_b64 s[56:57], s[56:57], exec
	s_mov_b64 vcc, -1
	s_or_b64 s[52:53], s[52:53], s[56:57]
	s_and_saveexec_b64 s[56:57], s[54:55]
	s_cbranch_execz .LBB0_623
; %bb.627:                              ;   in Loop: Header=BB0_624 Depth=3
	s_sleep 1
	s_trap 2
	ds_read_b64 v[2:3], v0
	s_andn2_b64 s[52:53], s[52:53], exec
	s_waitcnt lgkmcnt(0)
	v_cmp_ge_u64_e32 vcc, v[2:3], v[54:55]
	s_orn2_b64 vcc, vcc, exec
	s_branch .LBB0_623
.LBB0_628:                              ;   in Loop: Header=BB0_220 Depth=2
	s_or_b64 exec, exec, s[48:49]
	s_and_saveexec_b64 vcc, s[50:51]
	s_xor_b64 vcc, exec, vcc
	s_cbranch_execz .LBB0_630
; %bb.629:                              ;   in Loop: Header=BB0_220 Depth=2
	v_mov_b32_e32 v1, 1
	ds_write_b32 v0, v1
	s_trap 2
.LBB0_630:                              ;   in Loop: Header=BB0_220 Depth=2
	s_or_b64 exec, exec, s[46:47]
	;;#ASMSTART
	s_wakeup
	;;#ASMEND
.LBB0_631:                              ;   in Loop: Header=BB0_220 Depth=2
	s_or_b64 exec, exec, s[44:45]
.LBB0_632:                              ;   in Loop: Header=BB0_220 Depth=2
	s_andn2_saveexec_b64 vcc, s[42:43]
	s_cbranch_execz .LBB0_634
; %bb.633:                              ;   in Loop: Header=BB0_220 Depth=2
	s_waitcnt vmcnt(0) lgkmcnt(0)
	buffer_wbinvl1_vol
	s_barrier
.LBB0_634:                              ;   in Loop: Header=BB0_220 Depth=2
	s_or_b64 exec, exec, vcc
	s_or_b64 exec, exec, s[18:19]
	s_and_saveexec_b64 s[18:19], s[14:15]
	s_cbranch_execnz .LBB0_225
	s_branch .LBB0_226
.LBB0_635:                              ;   in Loop: Header=BB0_27 Depth=1
	s_waitcnt vmcnt(0) lgkmcnt(0)
	v_accvgpr_read_b32 v2, a10
	v_accvgpr_read_b32 v3, a11
	v_pk_mov_b32 v[16:17], v[28:29], v[28:29] op_sel:[0,1]
	s_and_saveexec_b64 s[18:19], s[16:17]
	s_cbranch_execnz .LBB0_637
	s_branch .LBB0_1010
.LBB0_636:                              ;   in Loop: Header=BB0_27 Depth=1
	s_waitcnt vmcnt(0) lgkmcnt(0)
	v_accvgpr_read_b32 v2, a10
	v_accvgpr_read_b32 v3, a11
	v_pk_mov_b32 v[16:17], v[28:29], v[28:29] op_sel:[0,1]
	v_accvgpr_read_b32 v38, a39
	v_accvgpr_read_b32 v4, a47
	v_accvgpr_read_b32 v5, a48
	s_and_saveexec_b64 s[18:19], s[16:17]
	s_cbranch_execz .LBB0_1010
.LBB0_637:                              ;   in Loop: Header=BB0_27 Depth=1
	v_accvgpr_read_b32 v0, a6
	v_accvgpr_read_b32 v1, a7
	flat_load_dword v8, v[0:1]
	v_accvgpr_read_b32 v2, a12
	v_accvgpr_read_b32 v3, a13
	v_add_co_u32_e32 v2, vcc, v2, v4
	v_addc_co_u32_e32 v3, vcc, v3, v5, vcc
	v_accvgpr_read_b32 v0, a37
	v_add_co_u32_e32 v0, vcc, v0, v4
	v_and_b32_e32 v4, 7, v34
	v_accvgpr_read_b32 v1, a38
	v_mul_lo_u32 v4, v4, s58
	v_addc_co_u32_e32 v1, vcc, v1, v5, vcc
	v_ashrrev_i32_e32 v5, 31, v4
	v_lshlrev_b64 v[4:5], 4, v[4:5]
	v_accvgpr_read_b32 v10, a18
	v_accvgpr_read_b32 v11, a19
	v_add_co_u32_e32 v29, vcc, v10, v4
	v_addc_co_u32_e32 v41, vcc, v11, v5, vcc
	v_accvgpr_read_b32 v5, a28
	v_accvgpr_read_b32 v9, a3
	v_add_u32_e32 v28, 1, v34
	s_mov_b64 s[42:43], 0
	v_accvgpr_read_b32 v26, a2
	s_waitcnt vmcnt(0) lgkmcnt(0)
	v_ashrrev_i32_e32 v4, 31, v8
	v_mul_lo_u32 v5, v5, v8
	v_mad_u64_u32 v[2:3], s[16:17], v9, v8, v[2:3]
	v_mul_lo_u32 v4, v9, v4
	v_add3_u32 v3, v5, v3, v4
	v_accvgpr_read_b32 v4, a34
	v_add_co_u32_e32 v18, vcc, v2, v4
	v_accvgpr_read_b32 v5, a33
	v_addc_co_u32_e32 v19, vcc, v3, v5, vcc
	s_branch .LBB0_639
.LBB0_638:                              ;   in Loop: Header=BB0_639 Depth=2
	v_add_co_u32_e32 v18, vcc, v18, v56
	v_addc_co_u32_e32 v19, vcc, v19, v45, vcc
	v_add_co_u32_e32 v0, vcc, v0, v56
	v_addc_co_u32_e32 v1, vcc, v1, v45, vcc
	v_sub_u32_e32 v32, v32, v56
	v_cmp_gt_i32_e32 vcc, 1, v32
	s_or_b64 s[42:43], vcc, s[42:43]
	v_add_u32_e32 v26, v26, v20
	s_andn2_b64 exec, exec, s[42:43]
	s_cbranch_execz .LBB0_1009
.LBB0_639:                              ;   Parent Loop BB0_27 Depth=1
                                        ; =>  This Loop Header: Depth=2
                                        ;       Child Loop BB0_647 Depth 3
	v_and_b32_e32 v2, -4, v18
	v_mov_b32_e32 v3, v19
	global_load_dword v8, v[2:3], off glc slc
	v_min_u32_e32 v4, 8, v32
	v_and_b32_e32 v5, 3, v18
	v_add_co_u32_e32 v4, vcc, v5, v4
	v_addc_co_u32_e64 v5, s[16:17], 0, 0, vcc
	v_mov_b32_e32 v9, 0
	v_cmp_lt_u64_e32 vcc, 4, v[4:5]
	v_mov_b32_e32 v33, 0
	s_and_saveexec_b64 s[16:17], vcc
	s_cbranch_execz .LBB0_641
; %bb.640:                              ;   in Loop: Header=BB0_639 Depth=2
	global_load_dword v33, v[2:3], off offset:4 glc slc
.LBB0_641:                              ;   in Loop: Header=BB0_639 Depth=2
	s_or_b64 exec, exec, s[16:17]
	v_cmp_lt_u64_e32 vcc, 8, v[4:5]
	s_and_saveexec_b64 s[16:17], vcc
	s_cbranch_execz .LBB0_643
; %bb.642:                              ;   in Loop: Header=BB0_639 Depth=2
	global_load_dword v9, v[2:3], off offset:8 glc slc
.LBB0_643:                              ;   in Loop: Header=BB0_639 Depth=2
	s_or_b64 exec, exec, s[16:17]
	v_ashrrev_i32_e32 v27, 31, v26
	v_lshlrev_b64 v[2:3], 4, v[26:27]
	v_add_co_u32_e32 v10, vcc, v29, v2
	v_addc_co_u32_e32 v11, vcc, v41, v3, vcc
	global_load_dwordx4 v[2:5], v[10:11], off glc slc
	v_cmp_eq_u32_e32 vcc, 0, v40
	s_and_saveexec_b64 s[44:45], vcc
	s_cbranch_execz .LBB0_655
; %bb.644:                              ;   in Loop: Header=BB0_639 Depth=2
	s_waitcnt vmcnt(0)
	v_cmp_ne_u32_e32 vcc, v28, v3
	v_cmp_ne_u32_e64 s[16:17], v28, v5
	s_or_b64 s[16:17], vcc, s[16:17]
	v_mov_b32_e32 v40, 0
	s_and_saveexec_b64 s[46:47], s[16:17]
	s_cbranch_execz .LBB0_654
; %bb.645:                              ;   in Loop: Header=BB0_639 Depth=2
	s_mov_b32 s52, 1
	s_mov_b64 s[48:49], 0
	v_mov_b32_e32 v40, 0
	s_branch .LBB0_647
.LBB0_646:                              ;   in Loop: Header=BB0_647 Depth=3
	s_or_b64 exec, exec, s[50:51]
	s_and_b64 s[16:17], exec, s[16:17]
	s_or_b64 s[48:49], s[16:17], s[48:49]
	s_andn2_b64 exec, exec, s[48:49]
	s_cbranch_execz .LBB0_653
.LBB0_647:                              ;   Parent Loop BB0_27 Depth=1
                                        ;     Parent Loop BB0_639 Depth=2
                                        ; =>    This Inner Loop Header: Depth=3
	global_load_dwordx4 v[2:5], v[10:11], off glc slc
	s_add_i32 s52, s52, 1
	s_cmpk_lg_i32 s52, 0x2710
	s_cbranch_scc1 .LBB0_651
; %bb.648:                              ;   in Loop: Header=BB0_647 Depth=3
	s_trap 2
	ds_read_b64 v[22:23], v0
	s_waitcnt vmcnt(0) lgkmcnt(0)
	flat_load_dword v21, v[22:23] glc
	s_waitcnt vmcnt(0) lgkmcnt(0)
	buffer_invl2
	buffer_wbinvl1_vol
	v_cmp_ne_u32_e32 vcc, 0, v21
	s_and_saveexec_b64 s[16:17], vcc
	s_cbranch_execz .LBB0_650
; %bb.649:                              ;   in Loop: Header=BB0_647 Depth=3
	v_mov_b32_e32 v40, 1
	ds_write_b32 v0, v21
	s_trap 2
.LBB0_650:                              ;   in Loop: Header=BB0_647 Depth=3
	s_or_b64 exec, exec, s[16:17]
	s_mov_b32 s52, 0
	v_mov_b32_e32 v21, v40
	v_cmp_eq_u32_e32 vcc, 0, v21
	s_mov_b64 s[16:17], -1
	s_and_saveexec_b64 s[50:51], vcc
	s_cbranch_execz .LBB0_646
	s_branch .LBB0_652
.LBB0_651:                              ;   in Loop: Header=BB0_647 Depth=3
	v_mov_b32_e32 v21, 0
	v_cmp_eq_u32_e32 vcc, 0, v21
	s_mov_b64 s[16:17], -1
	s_and_saveexec_b64 s[50:51], vcc
	s_cbranch_execz .LBB0_646
.LBB0_652:                              ;   in Loop: Header=BB0_647 Depth=3
	s_waitcnt vmcnt(0)
	v_cmp_eq_u32_e32 vcc, v28, v3
	v_cmp_eq_u32_e64 s[16:17], v28, v5
	s_and_b64 s[16:17], vcc, s[16:17]
	s_orn2_b64 s[16:17], s[16:17], exec
	s_branch .LBB0_646
.LBB0_653:                              ;   in Loop: Header=BB0_639 Depth=2
	s_or_b64 exec, exec, s[48:49]
.LBB0_654:                              ;   in Loop: Header=BB0_639 Depth=2
	s_or_b64 exec, exec, s[46:47]
.LBB0_655:                              ;   in Loop: Header=BB0_639 Depth=2
	s_or_b64 exec, exec, s[44:45]
	v_lshlrev_b32_e32 v27, 3, v18
	s_waitcnt vmcnt(0)
	v_alignbit_b32 v42, v33, v8, v27
	v_cmp_ne_u16_sdwa vcc, v42, v43 src0_sel:BYTE_0 src1_sel:DWORD
	v_mov_b32_e32 v8, 0
	s_and_saveexec_b64 s[16:17], vcc
	s_cbranch_execz .LBB0_661
; %bb.656:                              ;   in Loop: Header=BB0_639 Depth=2
	v_cmp_ne_u16_sdwa vcc, v42, s61 src0_sel:BYTE_0 src1_sel:DWORD
	v_bfrev_b32_e32 v8, 1
	s_and_saveexec_b64 s[44:45], vcc
	s_cbranch_execz .LBB0_660
; %bb.657:                              ;   in Loop: Header=BB0_639 Depth=2
	v_and_b32_e32 v10, 0x7f, v42
	v_cmp_ne_u32_e32 vcc, s62, v10
	v_mov_b32_e32 v8, 0x7f800001
	s_and_saveexec_b64 s[46:47], vcc
	s_cbranch_execz .LBB0_659
; %bb.658:                              ;   in Loop: Header=BB0_639 Depth=2
	v_and_b32_e32 v8, 7, v42
	v_ffbh_u32_e32 v8, v8
	v_min_u32_e32 v8, 32, v8
	v_subrev_u32_e32 v21, 28, v8
	v_cmp_gt_u32_e32 vcc, 8, v10
	v_lshrrev_b32_e32 v11, 3, v10
	v_sub_u32_e32 v8, 29, v8
	v_cndmask_b32_e32 v10, 0, v21, vcc
	v_cndmask_b32_e32 v8, v11, v8, vcc
	v_lshlrev_b64 v[10:11], v10, v[42:43]
	v_lshlrev_b32_e32 v10, 20, v10
	v_lshlrev_b32_e32 v11, 24, v42
	v_and_b32_e32 v10, 0x700000, v10
	v_and_b32_e32 v11, 0x80000000, v11
	v_lshl_add_u32 v8, v8, 23, v47
	v_or3_b32 v8, v11, v8, v10
.LBB0_659:                              ;   in Loop: Header=BB0_639 Depth=2
	s_or_b64 exec, exec, s[46:47]
.LBB0_660:                              ;   in Loop: Header=BB0_639 Depth=2
	s_or_b64 exec, exec, s[44:45]
.LBB0_661:                              ;   in Loop: Header=BB0_639 Depth=2
	s_or_b64 exec, exec, s[16:17]
	v_mul_f32_e32 v24, v62, v8
	v_and_b32_sdwa v21, v24, s61 dst_sel:DWORD dst_unused:UNUSED_PAD src0_sel:BYTE_3 src1_sel:DWORD
	v_and_b32_e32 v22, 0x7f800000, v24
	v_mov_b32_e32 v23, v43
	v_and_b32_e32 v10, 0x7fffff, v24
	v_mov_b32_e32 v11, v43
	v_or_b32_e32 v8, 0x7e, v21
	v_cmp_ne_u64_e32 vcc, s[36:37], v[22:23]
	s_and_saveexec_b64 s[16:17], vcc
	s_xor_b64 s[44:45], exec, s[16:17]
	s_cbranch_execz .LBB0_671
; %bb.662:                              ;   in Loop: Header=BB0_639 Depth=2
	v_and_b32_e32 v22, 0x7fffffff, v24
	v_mov_b32_e32 v23, v43
	v_cmp_gt_u64_e32 vcc, s[38:39], v[22:23]
	s_and_saveexec_b64 s[46:47], vcc
	s_cbranch_execz .LBB0_670
; %bb.663:                              ;   in Loop: Header=BB0_639 Depth=2
	v_cmp_ne_u32_e32 vcc, 0, v24
	v_mov_b32_e32 v8, 0
	s_and_saveexec_b64 s[48:49], vcc
	s_cbranch_execz .LBB0_669
; %bb.664:                              ;   in Loop: Header=BB0_639 Depth=2
	v_bfe_u32 v8, v24, 23, 8
	v_sub_u32_e32 v23, 0x79, v8
	v_cmp_gt_u32_e32 vcc, s63, v8
	v_cndmask_b32_e32 v23, 0, v23, vcc
	v_cmp_eq_u32_e32 vcc, 0, v8
	v_add_u32_e32 v22, 0xffffff81, v8
	v_cndmask_b32_e32 v25, v23, v6, vcc
	v_cndmask_b32_e32 v8, v22, v30, vcc
	v_add_u32_e32 v22, 20, v25
	v_or_b32_e32 v24, 0x800000, v10
	v_lshlrev_b64 v[22:23], v22, -1
	v_cndmask_b32_e32 v10, v24, v10, vcc
	v_not_b32_e32 v22, v22
	v_and_b32_e32 v22, v10, v22
	v_add_u32_e32 v24, 19, v25
	v_lshrrev_b64 v[10:11], v25, v[10:11]
	v_not_b32_e32 v23, v23
	v_lshlrev_b64 v[48:49], v24, 1
	v_lshrrev_b32_e32 v24, 23, v10
	v_and_b32_e32 v23, 0, v23
	v_add3_u32 v25, v25, v8, v24
	v_bfe_u32 v8, v10, 20, 1
	v_add_u32_e32 v8, -1, v8
	v_cmp_eq_u64_e32 vcc, v[22:23], v[48:49]
	v_cndmask_b32_e32 v8, 0, v8, vcc
	v_add_u32_e32 v8, v8, v10
	v_and_b32_e32 v8, 0xfffff, v8
	v_add_co_u32_e32 v10, vcc, v8, v10
	v_add_u32_e32 v24, 6, v25
	v_addc_co_u32_e32 v11, vcc, 0, v11, vcc
	v_cmp_ne_u32_e32 vcc, 0, v24
                                        ; implicit-def: $vgpr8
	s_and_saveexec_b64 s[16:17], vcc
	s_xor_b64 s[16:17], exec, s[16:17]
; %bb.665:                              ;   in Loop: Header=BB0_639 Depth=2
	v_cmp_lt_u64_e32 vcc, s[40:41], v[10:11]
	v_add_u32_e32 v8, 7, v25
	v_cndmask_b32_e64 v22, 0, 1, vcc
	v_cndmask_b32_e32 v8, v24, v8, vcc
	v_lshrrev_b64 v[10:11], v22, v[10:11]
; %bb.666:                              ;   in Loop: Header=BB0_639 Depth=2
	s_andn2_saveexec_b64 s[16:17], s[16:17]
; %bb.667:                              ;   in Loop: Header=BB0_639 Depth=2
	v_bfe_u32 v8, v10, 23, 1
; %bb.668:                              ;   in Loop: Header=BB0_639 Depth=2
	s_or_b64 exec, exec, s[16:17]
	v_lshrrev_b64 v[10:11], 20, v[10:11]
	v_cmp_gt_i32_e32 vcc, 16, v8
	v_cndmask_b32_e32 v11, 0, v11, vcc
	v_cndmask_b32_e32 v10, 7, v10, vcc
	v_cmp_eq_u32_e32 vcc, 0, v8
	v_min_i32_e32 v8, 15, v8
	v_cmp_eq_u64_e64 s[16:17], 0, v[10:11]
	v_lshlrev_b32_e32 v8, 3, v8
	v_and_or_b32 v8, v10, 7, v8
	s_and_b64 s[16:17], vcc, s[16:17]
	v_cndmask_b32_e64 v8, v8, 0, s[16:17]
	v_or_b32_e32 v8, v8, v21
.LBB0_669:                              ;   in Loop: Header=BB0_639 Depth=2
	s_or_b64 exec, exec, s[48:49]
.LBB0_670:                              ;   in Loop: Header=BB0_639 Depth=2
	s_or_b64 exec, exec, s[46:47]
                                        ; implicit-def: $vgpr24
                                        ; implicit-def: $vgpr10_vgpr11
.LBB0_671:                              ;   in Loop: Header=BB0_639 Depth=2
	s_andn2_saveexec_b64 s[16:17], s[44:45]
; %bb.672:                              ;   in Loop: Header=BB0_639 Depth=2
	v_or_b32_sdwa v21, v24, s62 dst_sel:DWORD dst_unused:UNUSED_PAD src0_sel:BYTE_3 src1_sel:DWORD
	v_cmp_eq_u64_e32 vcc, 0, v[10:11]
	v_cndmask_b32_e32 v8, v21, v8, vcc
; %bb.673:                              ;   in Loop: Header=BB0_639 Depth=2
	s_or_b64 exec, exec, s[16:17]
	v_lshrrev_b16_e32 v10, 8, v42
	v_cmp_ne_u16_e32 vcc, 0, v10
	v_mov_b32_e32 v11, 0
	s_and_saveexec_b64 s[16:17], vcc
	s_cbranch_execz .LBB0_679
; %bb.674:                              ;   in Loop: Header=BB0_639 Depth=2
	v_cmp_ne_u16_e32 vcc, s61, v10
	v_bfrev_b32_e32 v11, 1
	s_and_saveexec_b64 s[44:45], vcc
	s_cbranch_execz .LBB0_678
; %bb.675:                              ;   in Loop: Header=BB0_639 Depth=2
	v_and_b32_e32 v21, 0x7f, v10
	v_cmp_ne_u32_e32 vcc, s62, v21
	v_mov_b32_e32 v11, 0x7f800001
	s_and_saveexec_b64 s[46:47], vcc
	s_cbranch_execz .LBB0_677
; %bb.676:                              ;   in Loop: Header=BB0_639 Depth=2
	v_and_b32_e32 v22, 7, v10
	v_ffbh_u32_e32 v11, v22
	v_min_u32_e32 v24, 32, v11
	v_subrev_u32_e32 v11, 28, v24
	v_lshlrev_b64 v[10:11], v11, v[10:11]
	v_lshrrev_b32_e32 v23, 3, v21
	v_sub_u32_e32 v11, 29, v24
	v_and_b32_e32 v10, 7, v10
	v_cmp_gt_u32_e32 vcc, 8, v21
	v_cndmask_b32_e32 v11, v23, v11, vcc
	v_cndmask_b32_e32 v10, v22, v10, vcc
	v_lshlrev_b32_e32 v21, 16, v42
	v_lshlrev_b32_e32 v10, 20, v10
	v_and_b32_e32 v21, 0x80000000, v21
	v_lshl_add_u32 v11, v11, 23, v47
	v_or3_b32 v11, v21, v11, v10
.LBB0_677:                              ;   in Loop: Header=BB0_639 Depth=2
	s_or_b64 exec, exec, s[46:47]
.LBB0_678:                              ;   in Loop: Header=BB0_639 Depth=2
	s_or_b64 exec, exec, s[44:45]
.LBB0_679:                              ;   in Loop: Header=BB0_639 Depth=2
	s_or_b64 exec, exec, s[16:17]
	v_mul_f32_e32 v24, v62, v11
	v_and_b32_sdwa v21, v24, s61 dst_sel:DWORD dst_unused:UNUSED_PAD src0_sel:BYTE_3 src1_sel:DWORD
	v_and_b32_e32 v22, 0x7f800000, v24
	v_mov_b32_e32 v23, v43
	v_and_b32_e32 v10, 0x7fffff, v24
	v_mov_b32_e32 v11, v43
	v_or_b32_e32 v31, 0x7e, v21
	v_cmp_ne_u64_e32 vcc, s[36:37], v[22:23]
	s_and_saveexec_b64 s[16:17], vcc
	s_xor_b64 s[44:45], exec, s[16:17]
	s_cbranch_execz .LBB0_689
; %bb.680:                              ;   in Loop: Header=BB0_639 Depth=2
	v_and_b32_e32 v22, 0x7fffffff, v24
	v_mov_b32_e32 v23, v43
	v_cmp_gt_u64_e32 vcc, s[38:39], v[22:23]
	s_and_saveexec_b64 s[46:47], vcc
	s_cbranch_execz .LBB0_688
; %bb.681:                              ;   in Loop: Header=BB0_639 Depth=2
	v_cmp_ne_u32_e32 vcc, 0, v24
	v_mov_b32_e32 v31, 0
	s_and_saveexec_b64 s[48:49], vcc
	s_cbranch_execz .LBB0_687
; %bb.682:                              ;   in Loop: Header=BB0_639 Depth=2
	v_bfe_u32 v22, v24, 23, 8
	v_sub_u32_e32 v24, 0x79, v22
	v_cmp_gt_u32_e32 vcc, s63, v22
	v_cndmask_b32_e32 v24, 0, v24, vcc
	v_cmp_eq_u32_e32 vcc, 0, v22
	v_cndmask_b32_e32 v24, v24, v6, vcc
	v_add_u32_e32 v23, 0xffffff81, v22
	v_add_u32_e32 v22, 20, v24
	v_or_b32_e32 v25, 0x800000, v10
	v_cndmask_b32_e32 v31, v23, v30, vcc
	v_lshlrev_b64 v[22:23], v22, -1
	v_cndmask_b32_e32 v10, v25, v10, vcc
	v_not_b32_e32 v22, v22
	v_and_b32_e32 v22, v10, v22
	v_add_u32_e32 v25, 19, v24
	v_lshrrev_b64 v[10:11], v24, v[10:11]
	v_not_b32_e32 v23, v23
	v_lshlrev_b64 v[48:49], v25, 1
	v_lshrrev_b32_e32 v25, 23, v10
	v_and_b32_e32 v23, 0, v23
	v_add3_u32 v31, v24, v31, v25
	v_bfe_u32 v24, v10, 20, 1
	v_add_u32_e32 v24, -1, v24
	v_cmp_eq_u64_e32 vcc, v[22:23], v[48:49]
	v_cndmask_b32_e32 v22, 0, v24, vcc
	v_add_u32_e32 v22, v22, v10
	v_and_b32_e32 v22, 0xfffff, v22
	v_add_co_u32_e32 v10, vcc, v22, v10
	v_add_u32_e32 v25, 6, v31
	v_addc_co_u32_e32 v11, vcc, 0, v11, vcc
	v_cmp_ne_u32_e32 vcc, 0, v25
                                        ; implicit-def: $vgpr24
	s_and_saveexec_b64 s[16:17], vcc
	s_xor_b64 s[16:17], exec, s[16:17]
; %bb.683:                              ;   in Loop: Header=BB0_639 Depth=2
	v_add_u32_e32 v22, 7, v31
	v_cmp_lt_u64_e32 vcc, s[40:41], v[10:11]
	v_cndmask_b32_e32 v24, v25, v22, vcc
	v_cndmask_b32_e64 v22, 0, 1, vcc
	v_lshrrev_b64 v[10:11], v22, v[10:11]
; %bb.684:                              ;   in Loop: Header=BB0_639 Depth=2
	s_andn2_saveexec_b64 s[16:17], s[16:17]
; %bb.685:                              ;   in Loop: Header=BB0_639 Depth=2
	v_bfe_u32 v24, v10, 23, 1
; %bb.686:                              ;   in Loop: Header=BB0_639 Depth=2
	s_or_b64 exec, exec, s[16:17]
	v_lshrrev_b64 v[10:11], 20, v[10:11]
	v_cmp_gt_i32_e32 vcc, 16, v24
	v_cndmask_b32_e32 v11, 0, v11, vcc
	v_cndmask_b32_e32 v10, 7, v10, vcc
	v_cmp_eq_u64_e64 s[16:17], 0, v[10:11]
	v_min_i32_e32 v11, 15, v24
	v_cmp_eq_u32_e32 vcc, 0, v24
	v_lshlrev_b32_e32 v11, 3, v11
	v_and_or_b32 v10, v10, 7, v11
	s_and_b64 s[16:17], vcc, s[16:17]
	v_cndmask_b32_e64 v10, v10, 0, s[16:17]
	v_or_b32_e32 v31, v10, v21
.LBB0_687:                              ;   in Loop: Header=BB0_639 Depth=2
	s_or_b64 exec, exec, s[48:49]
.LBB0_688:                              ;   in Loop: Header=BB0_639 Depth=2
	s_or_b64 exec, exec, s[46:47]
                                        ; implicit-def: $vgpr24
                                        ; implicit-def: $vgpr10_vgpr11
.LBB0_689:                              ;   in Loop: Header=BB0_639 Depth=2
	s_andn2_saveexec_b64 s[16:17], s[44:45]
; %bb.690:                              ;   in Loop: Header=BB0_639 Depth=2
	v_or_b32_sdwa v21, v24, s62 dst_sel:DWORD dst_unused:UNUSED_PAD src0_sel:BYTE_3 src1_sel:DWORD
	v_cmp_eq_u64_e32 vcc, 0, v[10:11]
	v_cndmask_b32_e32 v31, v21, v31, vcc
; %bb.691:                              ;   in Loop: Header=BB0_639 Depth=2
	s_or_b64 exec, exec, s[16:17]
	v_and_b32_sdwa v21, v42, s60 dst_sel:DWORD dst_unused:UNUSED_PAD src0_sel:WORD_1 src1_sel:DWORD
	v_lshrrev_b32_e32 v10, 16, v42
	v_cmp_ne_u16_e32 vcc, 0, v21
	v_mov_b32_e32 v11, 0
	s_and_saveexec_b64 s[16:17], vcc
	s_cbranch_execz .LBB0_697
; %bb.692:                              ;   in Loop: Header=BB0_639 Depth=2
	v_cmp_ne_u16_e32 vcc, s61, v21
	v_bfrev_b32_e32 v11, 1
	s_and_saveexec_b64 s[44:45], vcc
	s_cbranch_execz .LBB0_696
; %bb.693:                              ;   in Loop: Header=BB0_639 Depth=2
	v_bfe_u32 v21, v42, 16, 7
	v_cmp_ne_u32_e32 vcc, s62, v21
	v_mov_b32_e32 v11, 0x7f800001
	s_and_saveexec_b64 s[46:47], vcc
	s_cbranch_execz .LBB0_695
; %bb.694:                              ;   in Loop: Header=BB0_639 Depth=2
	v_and_b32_e32 v22, 7, v10
	v_ffbh_u32_e32 v11, v22
	v_min_u32_e32 v24, 32, v11
	v_subrev_u32_e32 v11, 28, v24
	v_lshlrev_b64 v[10:11], v11, v[10:11]
	v_lshrrev_b32_e32 v23, 3, v21
	v_sub_u32_e32 v11, 29, v24
	v_and_b32_e32 v10, 7, v10
	v_cmp_gt_u32_e32 vcc, 8, v21
	v_cndmask_b32_e32 v11, v23, v11, vcc
	v_cndmask_b32_e32 v10, v22, v10, vcc
	v_lshlrev_b32_sdwa v21, v7, v42 dst_sel:DWORD dst_unused:UNUSED_PAD src0_sel:DWORD src1_sel:WORD_1
	v_lshlrev_b32_e32 v10, 20, v10
	v_and_b32_e32 v21, 0x80000000, v21
	v_lshl_add_u32 v11, v11, 23, v47
	v_or3_b32 v11, v21, v11, v10
.LBB0_695:                              ;   in Loop: Header=BB0_639 Depth=2
	s_or_b64 exec, exec, s[46:47]
.LBB0_696:                              ;   in Loop: Header=BB0_639 Depth=2
	s_or_b64 exec, exec, s[44:45]
.LBB0_697:                              ;   in Loop: Header=BB0_639 Depth=2
	s_or_b64 exec, exec, s[16:17]
	v_mul_f32_e32 v11, v62, v11
	v_and_b32_sdwa v21, v11, s61 dst_sel:DWORD dst_unused:UNUSED_PAD src0_sel:BYTE_3 src1_sel:DWORD
	v_and_b32_e32 v22, 0x7f800000, v11
	v_mov_b32_e32 v23, v43
	v_and_b32_e32 v24, 0x7fffff, v11
	v_mov_b32_e32 v25, v43
	v_or_b32_e32 v10, 0x7e, v21
	v_cmp_ne_u64_e32 vcc, s[36:37], v[22:23]
	s_and_saveexec_b64 s[16:17], vcc
	s_xor_b64 s[44:45], exec, s[16:17]
	s_cbranch_execz .LBB0_707
; %bb.698:                              ;   in Loop: Header=BB0_639 Depth=2
	v_and_b32_e32 v22, 0x7fffffff, v11
	v_mov_b32_e32 v23, v43
	v_cmp_gt_u64_e32 vcc, s[38:39], v[22:23]
	s_and_saveexec_b64 s[46:47], vcc
	s_cbranch_execz .LBB0_706
; %bb.699:                              ;   in Loop: Header=BB0_639 Depth=2
	v_cmp_ne_u32_e32 vcc, 0, v11
	v_mov_b32_e32 v10, 0
	s_and_saveexec_b64 s[48:49], vcc
	s_cbranch_execz .LBB0_705
; %bb.700:                              ;   in Loop: Header=BB0_639 Depth=2
	v_bfe_u32 v10, v11, 23, 8
	v_sub_u32_e32 v22, 0x79, v10
	v_cmp_gt_u32_e32 vcc, s63, v10
	v_cndmask_b32_e32 v22, 0, v22, vcc
	v_cmp_eq_u32_e32 vcc, 0, v10
	v_cndmask_b32_e32 v37, v22, v6, vcc
	v_add_u32_e32 v11, 0xffffff81, v10
	v_or_b32_e32 v23, 0x800000, v24
	v_add_u32_e32 v10, 20, v37
	v_cndmask_b32_e32 v36, v11, v30, vcc
	v_cndmask_b32_e32 v24, v23, v24, vcc
	v_lshlrev_b64 v[10:11], v10, -1
	v_not_b32_e32 v10, v10
	v_lshrrev_b64 v[60:61], v37, v[24:25]
	v_not_b32_e32 v11, v11
	v_and_b32_e32 v10, v24, v10
	v_add_u32_e32 v22, 19, v37
	v_lshrrev_b32_e32 v24, 23, v60
	v_and_b32_e32 v11, 0, v11
	v_lshlrev_b64 v[22:23], v22, 1
	v_add3_u32 v48, v37, v36, v24
	v_bfe_u32 v24, v60, 20, 1
	v_add_u32_e32 v24, -1, v24
	v_cmp_eq_u64_e32 vcc, v[10:11], v[22:23]
	v_cndmask_b32_e32 v10, 0, v24, vcc
	v_add_u32_e32 v10, v10, v60
	v_and_b32_e32 v10, 0xfffff, v10
	v_add_co_u32_e32 v10, vcc, v10, v60
	v_add_u32_e32 v25, 6, v48
	v_addc_co_u32_e32 v11, vcc, 0, v61, vcc
	v_cmp_ne_u32_e32 vcc, 0, v25
                                        ; implicit-def: $vgpr24
	s_and_saveexec_b64 s[16:17], vcc
	s_xor_b64 s[16:17], exec, s[16:17]
; %bb.701:                              ;   in Loop: Header=BB0_639 Depth=2
	v_add_u32_e32 v22, 7, v48
	v_cmp_lt_u64_e32 vcc, s[40:41], v[10:11]
	v_cndmask_b32_e32 v24, v25, v22, vcc
	v_cndmask_b32_e64 v22, 0, 1, vcc
	v_lshrrev_b64 v[10:11], v22, v[10:11]
; %bb.702:                              ;   in Loop: Header=BB0_639 Depth=2
	s_andn2_saveexec_b64 s[16:17], s[16:17]
; %bb.703:                              ;   in Loop: Header=BB0_639 Depth=2
	v_bfe_u32 v24, v10, 23, 1
; %bb.704:                              ;   in Loop: Header=BB0_639 Depth=2
	s_or_b64 exec, exec, s[16:17]
	v_lshrrev_b64 v[10:11], 20, v[10:11]
	v_cmp_gt_i32_e32 vcc, 16, v24
	v_cndmask_b32_e32 v11, 0, v11, vcc
	v_cndmask_b32_e32 v10, 7, v10, vcc
	v_cmp_eq_u64_e64 s[16:17], 0, v[10:11]
	v_min_i32_e32 v11, 15, v24
	v_cmp_eq_u32_e32 vcc, 0, v24
	v_lshlrev_b32_e32 v11, 3, v11
	v_and_or_b32 v10, v10, 7, v11
	s_and_b64 s[16:17], vcc, s[16:17]
	v_cndmask_b32_e64 v10, v10, 0, s[16:17]
	v_or_b32_e32 v10, v10, v21
.LBB0_705:                              ;   in Loop: Header=BB0_639 Depth=2
	s_or_b64 exec, exec, s[48:49]
.LBB0_706:                              ;   in Loop: Header=BB0_639 Depth=2
	s_or_b64 exec, exec, s[46:47]
                                        ; implicit-def: $vgpr11
                                        ; implicit-def: $vgpr24_vgpr25
.LBB0_707:                              ;   in Loop: Header=BB0_639 Depth=2
	s_andn2_saveexec_b64 s[16:17], s[44:45]
; %bb.708:                              ;   in Loop: Header=BB0_639 Depth=2
	v_or_b32_sdwa v11, v11, s62 dst_sel:DWORD dst_unused:UNUSED_PAD src0_sel:BYTE_3 src1_sel:DWORD
	v_cmp_eq_u64_e32 vcc, 0, v[24:25]
	v_cndmask_b32_e32 v10, v11, v10, vcc
; %bb.709:                              ;   in Loop: Header=BB0_639 Depth=2
	s_or_b64 exec, exec, s[16:17]
	v_cmp_lt_u32_e32 vcc, s64, v42
	v_mov_b32_e32 v11, 0
	s_and_saveexec_b64 s[16:17], vcc
	s_cbranch_execz .LBB0_715
; %bb.710:                              ;   in Loop: Header=BB0_639 Depth=2
	v_lshrrev_b32_e32 v24, 24, v42
	v_cmp_ne_u32_sdwa vcc, v42, s61 src0_sel:BYTE_3 src1_sel:DWORD
	v_bfrev_b32_e32 v11, 1
	s_and_saveexec_b64 s[44:45], vcc
	s_cbranch_execz .LBB0_714
; %bb.711:                              ;   in Loop: Header=BB0_639 Depth=2
	v_bfe_u32 v21, v42, 24, 7
	v_cmp_ne_u32_e32 vcc, s62, v21
	v_mov_b32_e32 v11, 0x7f800001
	s_and_saveexec_b64 s[46:47], vcc
	s_cbranch_execz .LBB0_713
; %bb.712:                              ;   in Loop: Header=BB0_639 Depth=2
	v_and_b32_e32 v11, 7, v24
	v_ffbh_u32_e32 v22, v11
	v_min_u32_e32 v36, 32, v22
	v_lshrrev_b32_e32 v25, 3, v21
	v_subrev_u32_e32 v22, 28, v36
	v_lshlrev_b64 v[22:23], v22, v[24:25]
	v_sub_u32_e32 v23, 29, v36
	v_and_b32_e32 v22, 7, v22
	v_cmp_gt_u32_e32 vcc, 8, v21
	v_cndmask_b32_e32 v21, v25, v23, vcc
	v_cndmask_b32_e32 v11, v11, v22, vcc
	v_lshlrev_b32_sdwa v22, v7, v42 dst_sel:DWORD dst_unused:UNUSED_PAD src0_sel:DWORD src1_sel:BYTE_3
	v_lshlrev_b32_e32 v11, 20, v11
	v_and_b32_e32 v22, 0x80000000, v22
	v_lshl_add_u32 v21, v21, 23, v47
	v_or3_b32 v11, v22, v21, v11
.LBB0_713:                              ;   in Loop: Header=BB0_639 Depth=2
	s_or_b64 exec, exec, s[46:47]
.LBB0_714:                              ;   in Loop: Header=BB0_639 Depth=2
	s_or_b64 exec, exec, s[44:45]
.LBB0_715:                              ;   in Loop: Header=BB0_639 Depth=2
	s_or_b64 exec, exec, s[16:17]
	v_mul_f32_e32 v24, v62, v11
	v_and_b32_sdwa v11, v24, s61 dst_sel:DWORD dst_unused:UNUSED_PAD src0_sel:BYTE_3 src1_sel:DWORD
	v_and_b32_e32 v22, 0x7f800000, v24
	v_mov_b32_e32 v23, v43
	v_and_b32_e32 v42, 0x7fffff, v24
	v_or_b32_e32 v21, 0x7e, v11
	v_cmp_ne_u64_e32 vcc, s[36:37], v[22:23]
	s_and_saveexec_b64 s[16:17], vcc
	s_xor_b64 s[44:45], exec, s[16:17]
	s_cbranch_execz .LBB0_725
; %bb.716:                              ;   in Loop: Header=BB0_639 Depth=2
	v_and_b32_e32 v22, 0x7fffffff, v24
	v_mov_b32_e32 v23, v43
	v_cmp_gt_u64_e32 vcc, s[38:39], v[22:23]
	s_and_saveexec_b64 s[46:47], vcc
	s_cbranch_execz .LBB0_724
; %bb.717:                              ;   in Loop: Header=BB0_639 Depth=2
	v_cmp_ne_u32_e32 vcc, 0, v24
	v_mov_b32_e32 v21, 0
	s_and_saveexec_b64 s[48:49], vcc
	s_cbranch_execz .LBB0_723
; %bb.718:                              ;   in Loop: Header=BB0_639 Depth=2
	v_bfe_u32 v21, v24, 23, 8
	v_sub_u32_e32 v23, 0x79, v21
	v_cmp_gt_u32_e32 vcc, s63, v21
	v_cndmask_b32_e32 v23, 0, v23, vcc
	v_cmp_eq_u32_e32 vcc, 0, v21
	v_add_u32_e32 v22, 0xffffff81, v21
	v_or_b32_e32 v24, 0x800000, v42
	v_cndmask_b32_e32 v36, v23, v6, vcc
	v_cndmask_b32_e32 v21, v22, v30, vcc
	;; [unrolled: 1-line block ×3, first 2 shown]
	v_add_u32_e32 v22, 20, v36
	v_lshlrev_b64 v[22:23], v22, -1
	v_lshrrev_b64 v[60:61], v36, v[42:43]
	v_not_b32_e32 v23, v23
	v_not_b32_e32 v22, v22
	v_add_u32_e32 v24, 19, v36
	v_lshrrev_b32_e32 v37, 23, v60
	v_and_b32_e32 v23, 0, v23
	v_and_b32_e32 v22, v42, v22
	v_lshlrev_b64 v[24:25], v24, 1
	v_add3_u32 v49, v36, v21, v37
	v_bfe_u32 v21, v60, 20, 1
	v_add_u32_e32 v21, -1, v21
	v_cmp_eq_u64_e32 vcc, v[22:23], v[24:25]
	v_cndmask_b32_e32 v21, 0, v21, vcc
	v_add_u32_e32 v21, v21, v60
	v_and_b32_e32 v21, 0xfffff, v21
	v_add_co_u32_e32 v24, vcc, v21, v60
	v_add_u32_e32 v48, 6, v49
	v_addc_co_u32_e32 v25, vcc, 0, v61, vcc
	v_cmp_ne_u32_e32 vcc, 0, v48
                                        ; implicit-def: $vgpr21
	s_and_saveexec_b64 s[16:17], vcc
	s_xor_b64 s[16:17], exec, s[16:17]
; %bb.719:                              ;   in Loop: Header=BB0_639 Depth=2
	v_cmp_lt_u64_e32 vcc, s[40:41], v[24:25]
	v_add_u32_e32 v21, 7, v49
	v_cndmask_b32_e64 v22, 0, 1, vcc
	v_cndmask_b32_e32 v21, v48, v21, vcc
	v_lshrrev_b64 v[24:25], v22, v[24:25]
; %bb.720:                              ;   in Loop: Header=BB0_639 Depth=2
	s_andn2_saveexec_b64 s[16:17], s[16:17]
; %bb.721:                              ;   in Loop: Header=BB0_639 Depth=2
	v_bfe_u32 v21, v24, 23, 1
; %bb.722:                              ;   in Loop: Header=BB0_639 Depth=2
	s_or_b64 exec, exec, s[16:17]
	v_lshrrev_b64 v[22:23], 20, v[24:25]
	v_cmp_gt_i32_e32 vcc, 16, v21
	v_cndmask_b32_e32 v23, 0, v23, vcc
	v_cndmask_b32_e32 v22, 7, v22, vcc
	v_cmp_eq_u32_e32 vcc, 0, v21
	v_min_i32_e32 v21, 15, v21
	v_cmp_eq_u64_e64 s[16:17], 0, v[22:23]
	v_lshlrev_b32_e32 v21, 3, v21
	v_and_or_b32 v21, v22, 7, v21
	s_and_b64 s[16:17], vcc, s[16:17]
	v_cndmask_b32_e64 v21, v21, 0, s[16:17]
	v_or_b32_e32 v21, v21, v11
.LBB0_723:                              ;   in Loop: Header=BB0_639 Depth=2
	s_or_b64 exec, exec, s[48:49]
.LBB0_724:                              ;   in Loop: Header=BB0_639 Depth=2
	s_or_b64 exec, exec, s[46:47]
                                        ; implicit-def: $vgpr24
.LBB0_725:                              ;   in Loop: Header=BB0_639 Depth=2
	s_andn2_saveexec_b64 s[16:17], s[44:45]
; %bb.726:                              ;   in Loop: Header=BB0_639 Depth=2
	v_or_b32_sdwa v11, v24, s62 dst_sel:DWORD dst_unused:UNUSED_PAD src0_sel:BYTE_3 src1_sel:DWORD
	v_cmp_eq_u64_e32 vcc, 0, v[42:43]
	v_cndmask_b32_e32 v21, v11, v21, vcc
; %bb.727:                              ;   in Loop: Header=BB0_639 Depth=2
	s_or_b64 exec, exec, s[16:17]
	v_alignbit_b32 v42, v9, v33, v27
	v_cmp_ne_u16_sdwa vcc, v42, v43 src0_sel:BYTE_0 src1_sel:DWORD
	v_mov_b32_e32 v9, 0
	s_and_saveexec_b64 s[16:17], vcc
	s_cbranch_execz .LBB0_733
; %bb.728:                              ;   in Loop: Header=BB0_639 Depth=2
	v_cmp_ne_u16_sdwa vcc, v42, s61 src0_sel:BYTE_0 src1_sel:DWORD
	v_bfrev_b32_e32 v9, 1
	s_and_saveexec_b64 s[44:45], vcc
	s_cbranch_execz .LBB0_732
; %bb.729:                              ;   in Loop: Header=BB0_639 Depth=2
	v_and_b32_e32 v11, 0x7f, v42
	v_cmp_ne_u32_e32 vcc, s62, v11
	v_mov_b32_e32 v9, 0x7f800001
	s_and_saveexec_b64 s[46:47], vcc
	s_cbranch_execz .LBB0_731
; %bb.730:                              ;   in Loop: Header=BB0_639 Depth=2
	v_and_b32_e32 v9, 7, v42
	v_ffbh_u32_e32 v9, v9
	v_min_u32_e32 v9, 32, v9
	v_subrev_u32_e32 v23, 28, v9
	v_cmp_gt_u32_e32 vcc, 8, v11
	v_lshrrev_b32_e32 v22, 3, v11
	v_sub_u32_e32 v9, 29, v9
	v_cndmask_b32_e32 v11, 0, v23, vcc
	v_cndmask_b32_e32 v9, v22, v9, vcc
	v_lshlrev_b64 v[22:23], v11, v[42:43]
	v_lshlrev_b32_e32 v11, 20, v22
	v_lshlrev_b32_e32 v22, 24, v42
	v_and_b32_e32 v11, 0x700000, v11
	v_and_b32_e32 v22, 0x80000000, v22
	v_lshl_add_u32 v9, v9, 23, v47
	v_or3_b32 v9, v22, v9, v11
.LBB0_731:                              ;   in Loop: Header=BB0_639 Depth=2
	s_or_b64 exec, exec, s[46:47]
.LBB0_732:                              ;   in Loop: Header=BB0_639 Depth=2
	s_or_b64 exec, exec, s[44:45]
.LBB0_733:                              ;   in Loop: Header=BB0_639 Depth=2
	s_or_b64 exec, exec, s[16:17]
	v_mul_f32_e32 v27, v62, v9
	v_and_b32_sdwa v11, v27, s61 dst_sel:DWORD dst_unused:UNUSED_PAD src0_sel:BYTE_3 src1_sel:DWORD
	v_and_b32_e32 v22, 0x7f800000, v27
	v_mov_b32_e32 v23, v43
	v_and_b32_e32 v24, 0x7fffff, v27
	v_mov_b32_e32 v25, v43
	v_or_b32_e32 v9, 0x7e, v11
	v_cmp_ne_u64_e32 vcc, s[36:37], v[22:23]
	s_and_saveexec_b64 s[16:17], vcc
	s_xor_b64 s[44:45], exec, s[16:17]
	s_cbranch_execz .LBB0_743
; %bb.734:                              ;   in Loop: Header=BB0_639 Depth=2
	v_and_b32_e32 v22, 0x7fffffff, v27
	v_mov_b32_e32 v23, v43
	v_cmp_gt_u64_e32 vcc, s[38:39], v[22:23]
	s_and_saveexec_b64 s[46:47], vcc
	s_cbranch_execz .LBB0_742
; %bb.735:                              ;   in Loop: Header=BB0_639 Depth=2
	v_cmp_ne_u32_e32 vcc, 0, v27
	v_mov_b32_e32 v9, 0
	s_and_saveexec_b64 s[48:49], vcc
	s_cbranch_execz .LBB0_741
; %bb.736:                              ;   in Loop: Header=BB0_639 Depth=2
	v_bfe_u32 v9, v27, 23, 8
	v_sub_u32_e32 v23, 0x79, v9
	v_cmp_gt_u32_e32 vcc, s63, v9
	v_cndmask_b32_e32 v23, 0, v23, vcc
	v_cmp_eq_u32_e32 vcc, 0, v9
	v_add_u32_e32 v22, 0xffffff81, v9
	v_cndmask_b32_e32 v33, v23, v6, vcc
	v_cndmask_b32_e32 v9, v22, v30, vcc
	v_add_u32_e32 v22, 20, v33
	v_or_b32_e32 v27, 0x800000, v24
	v_lshlrev_b64 v[22:23], v22, -1
	v_cndmask_b32_e32 v24, v27, v24, vcc
	v_not_b32_e32 v22, v22
	v_and_b32_e32 v22, v24, v22
	v_add_u32_e32 v27, 19, v33
	v_lshrrev_b64 v[24:25], v33, v[24:25]
	v_not_b32_e32 v23, v23
	v_lshlrev_b64 v[48:49], v27, 1
	v_lshrrev_b32_e32 v27, 23, v24
	v_and_b32_e32 v23, 0, v23
	v_add3_u32 v33, v33, v9, v27
	v_bfe_u32 v9, v24, 20, 1
	v_add_u32_e32 v9, -1, v9
	v_cmp_eq_u64_e32 vcc, v[22:23], v[48:49]
	v_cndmask_b32_e32 v9, 0, v9, vcc
	v_add_u32_e32 v9, v9, v24
	v_and_b32_e32 v9, 0xfffff, v9
	v_add_co_u32_e32 v24, vcc, v9, v24
	v_add_u32_e32 v27, 6, v33
	v_addc_co_u32_e32 v25, vcc, 0, v25, vcc
	v_cmp_ne_u32_e32 vcc, 0, v27
                                        ; implicit-def: $vgpr9
	s_and_saveexec_b64 s[16:17], vcc
	s_xor_b64 s[16:17], exec, s[16:17]
; %bb.737:                              ;   in Loop: Header=BB0_639 Depth=2
	v_cmp_lt_u64_e32 vcc, s[40:41], v[24:25]
	v_add_u32_e32 v9, 7, v33
	v_cndmask_b32_e64 v22, 0, 1, vcc
	v_cndmask_b32_e32 v9, v27, v9, vcc
	v_lshrrev_b64 v[24:25], v22, v[24:25]
; %bb.738:                              ;   in Loop: Header=BB0_639 Depth=2
	s_andn2_saveexec_b64 s[16:17], s[16:17]
; %bb.739:                              ;   in Loop: Header=BB0_639 Depth=2
	v_bfe_u32 v9, v24, 23, 1
; %bb.740:                              ;   in Loop: Header=BB0_639 Depth=2
	s_or_b64 exec, exec, s[16:17]
	v_lshrrev_b64 v[22:23], 20, v[24:25]
	v_cmp_gt_i32_e32 vcc, 16, v9
	v_cndmask_b32_e32 v23, 0, v23, vcc
	v_cndmask_b32_e32 v22, 7, v22, vcc
	v_cmp_eq_u32_e32 vcc, 0, v9
	v_min_i32_e32 v9, 15, v9
	v_cmp_eq_u64_e64 s[16:17], 0, v[22:23]
	v_lshlrev_b32_e32 v9, 3, v9
	v_and_or_b32 v9, v22, 7, v9
	s_and_b64 s[16:17], vcc, s[16:17]
	v_cndmask_b32_e64 v9, v9, 0, s[16:17]
	v_or_b32_e32 v9, v9, v11
.LBB0_741:                              ;   in Loop: Header=BB0_639 Depth=2
	s_or_b64 exec, exec, s[48:49]
.LBB0_742:                              ;   in Loop: Header=BB0_639 Depth=2
	s_or_b64 exec, exec, s[46:47]
                                        ; implicit-def: $vgpr27
                                        ; implicit-def: $vgpr24_vgpr25
.LBB0_743:                              ;   in Loop: Header=BB0_639 Depth=2
	s_andn2_saveexec_b64 s[16:17], s[44:45]
; %bb.744:                              ;   in Loop: Header=BB0_639 Depth=2
	v_or_b32_sdwa v11, v27, s62 dst_sel:DWORD dst_unused:UNUSED_PAD src0_sel:BYTE_3 src1_sel:DWORD
	v_cmp_eq_u64_e32 vcc, 0, v[24:25]
	v_cndmask_b32_e32 v9, v11, v9, vcc
; %bb.745:                              ;   in Loop: Header=BB0_639 Depth=2
	s_or_b64 exec, exec, s[16:17]
	v_lshrrev_b16_e32 v24, 8, v42
	v_cmp_ne_u16_e32 vcc, 0, v24
	v_mov_b32_e32 v11, 0
	s_and_saveexec_b64 s[16:17], vcc
	s_cbranch_execz .LBB0_751
; %bb.746:                              ;   in Loop: Header=BB0_639 Depth=2
	v_cmp_ne_u16_e32 vcc, s61, v24
	v_bfrev_b32_e32 v11, 1
	s_and_saveexec_b64 s[44:45], vcc
	s_cbranch_execz .LBB0_750
; %bb.747:                              ;   in Loop: Header=BB0_639 Depth=2
	v_and_b32_e32 v22, 0x7f, v24
	v_cmp_ne_u32_e32 vcc, s62, v22
	v_mov_b32_e32 v11, 0x7f800001
	s_and_saveexec_b64 s[46:47], vcc
	s_cbranch_execz .LBB0_749
; %bb.748:                              ;   in Loop: Header=BB0_639 Depth=2
	v_and_b32_e32 v11, 7, v24
	v_ffbh_u32_e32 v25, v11
	v_min_u32_e32 v27, 32, v25
	v_subrev_u32_e32 v25, 28, v27
	v_lshlrev_b64 v[24:25], v25, v[24:25]
	v_lshrrev_b32_e32 v23, 3, v22
	v_sub_u32_e32 v25, 29, v27
	v_and_b32_e32 v24, 7, v24
	v_cmp_gt_u32_e32 vcc, 8, v22
	v_cndmask_b32_e32 v22, v23, v25, vcc
	v_cndmask_b32_e32 v11, v11, v24, vcc
	v_lshlrev_b32_e32 v23, 16, v42
	v_lshlrev_b32_e32 v11, 20, v11
	v_and_b32_e32 v23, 0x80000000, v23
	v_lshl_add_u32 v22, v22, 23, v47
	v_or3_b32 v11, v23, v22, v11
.LBB0_749:                              ;   in Loop: Header=BB0_639 Depth=2
	s_or_b64 exec, exec, s[46:47]
.LBB0_750:                              ;   in Loop: Header=BB0_639 Depth=2
	s_or_b64 exec, exec, s[44:45]
.LBB0_751:                              ;   in Loop: Header=BB0_639 Depth=2
	s_or_b64 exec, exec, s[16:17]
	v_mul_f32_e32 v33, v62, v11
	v_and_b32_sdwa v11, v33, s61 dst_sel:DWORD dst_unused:UNUSED_PAD src0_sel:BYTE_3 src1_sel:DWORD
	v_and_b32_e32 v22, 0x7f800000, v33
	v_mov_b32_e32 v23, v43
	v_and_b32_e32 v24, 0x7fffff, v33
	v_mov_b32_e32 v25, v43
	v_or_b32_e32 v27, 0x7e, v11
	v_cmp_ne_u64_e32 vcc, s[36:37], v[22:23]
	s_and_saveexec_b64 s[16:17], vcc
	s_xor_b64 s[44:45], exec, s[16:17]
	s_cbranch_execz .LBB0_761
; %bb.752:                              ;   in Loop: Header=BB0_639 Depth=2
	v_and_b32_e32 v22, 0x7fffffff, v33
	v_mov_b32_e32 v23, v43
	v_cmp_gt_u64_e32 vcc, s[38:39], v[22:23]
	s_and_saveexec_b64 s[46:47], vcc
	s_cbranch_execz .LBB0_760
; %bb.753:                              ;   in Loop: Header=BB0_639 Depth=2
	v_cmp_ne_u32_e32 vcc, 0, v33
	v_mov_b32_e32 v27, 0
	s_and_saveexec_b64 s[48:49], vcc
	s_cbranch_execz .LBB0_759
; %bb.754:                              ;   in Loop: Header=BB0_639 Depth=2
	v_bfe_u32 v22, v33, 23, 8
	v_sub_u32_e32 v27, 0x79, v22
	v_cmp_gt_u32_e32 vcc, s63, v22
	v_cndmask_b32_e32 v27, 0, v27, vcc
	v_cmp_eq_u32_e32 vcc, 0, v22
	v_cndmask_b32_e32 v27, v27, v6, vcc
	v_add_u32_e32 v23, 0xffffff81, v22
	v_add_u32_e32 v22, 20, v27
	v_or_b32_e32 v33, 0x800000, v24
	v_cndmask_b32_e32 v36, v23, v30, vcc
	v_lshlrev_b64 v[22:23], v22, -1
	v_cndmask_b32_e32 v24, v33, v24, vcc
	v_not_b32_e32 v22, v22
	v_and_b32_e32 v22, v24, v22
	v_add_u32_e32 v33, 19, v27
	v_lshrrev_b64 v[24:25], v27, v[24:25]
	v_not_b32_e32 v23, v23
	v_lshlrev_b64 v[60:61], v33, 1
	v_lshrrev_b32_e32 v33, 23, v24
	v_and_b32_e32 v23, 0, v23
	v_add3_u32 v48, v27, v36, v33
	v_bfe_u32 v27, v24, 20, 1
	v_add_u32_e32 v27, -1, v27
	v_cmp_eq_u64_e32 vcc, v[22:23], v[60:61]
	v_cndmask_b32_e32 v22, 0, v27, vcc
	v_add_u32_e32 v22, v22, v24
	v_and_b32_e32 v22, 0xfffff, v22
	v_add_co_u32_e32 v24, vcc, v22, v24
	v_add_u32_e32 v33, 6, v48
	v_addc_co_u32_e32 v25, vcc, 0, v25, vcc
	v_cmp_ne_u32_e32 vcc, 0, v33
                                        ; implicit-def: $vgpr27
	s_and_saveexec_b64 s[16:17], vcc
	s_xor_b64 s[16:17], exec, s[16:17]
; %bb.755:                              ;   in Loop: Header=BB0_639 Depth=2
	v_add_u32_e32 v22, 7, v48
	v_cmp_lt_u64_e32 vcc, s[40:41], v[24:25]
	v_cndmask_b32_e32 v27, v33, v22, vcc
	v_cndmask_b32_e64 v22, 0, 1, vcc
	v_lshrrev_b64 v[24:25], v22, v[24:25]
; %bb.756:                              ;   in Loop: Header=BB0_639 Depth=2
	s_andn2_saveexec_b64 s[16:17], s[16:17]
; %bb.757:                              ;   in Loop: Header=BB0_639 Depth=2
	v_bfe_u32 v27, v24, 23, 1
; %bb.758:                              ;   in Loop: Header=BB0_639 Depth=2
	s_or_b64 exec, exec, s[16:17]
	v_lshrrev_b64 v[22:23], 20, v[24:25]
	v_cmp_gt_i32_e32 vcc, 16, v27
	v_cndmask_b32_e32 v23, 0, v23, vcc
	v_cndmask_b32_e32 v22, 7, v22, vcc
	v_cmp_eq_u64_e64 s[16:17], 0, v[22:23]
	v_min_i32_e32 v23, 15, v27
	v_lshlrev_b32_e32 v23, 3, v23
	v_cmp_eq_u32_e32 vcc, 0, v27
	v_and_b32_e32 v23, 0xf8, v23
	v_and_or_b32 v22, v22, 7, v23
	s_and_b64 s[16:17], vcc, s[16:17]
	v_cndmask_b32_e64 v22, v22, 0, s[16:17]
	v_or_b32_e32 v27, v22, v11
.LBB0_759:                              ;   in Loop: Header=BB0_639 Depth=2
	s_or_b64 exec, exec, s[48:49]
.LBB0_760:                              ;   in Loop: Header=BB0_639 Depth=2
	s_or_b64 exec, exec, s[46:47]
                                        ; implicit-def: $vgpr33
                                        ; implicit-def: $vgpr24_vgpr25
.LBB0_761:                              ;   in Loop: Header=BB0_639 Depth=2
	s_andn2_saveexec_b64 s[16:17], s[44:45]
; %bb.762:                              ;   in Loop: Header=BB0_639 Depth=2
	v_or_b32_sdwa v11, v33, s62 dst_sel:DWORD dst_unused:UNUSED_PAD src0_sel:BYTE_3 src1_sel:DWORD
	v_cmp_eq_u64_e32 vcc, 0, v[24:25]
	v_cndmask_b32_e32 v27, v11, v27, vcc
; %bb.763:                              ;   in Loop: Header=BB0_639 Depth=2
	s_or_b64 exec, exec, s[16:17]
	v_and_b32_sdwa v22, v42, s60 dst_sel:DWORD dst_unused:UNUSED_PAD src0_sel:WORD_1 src1_sel:DWORD
	v_lshrrev_b32_e32 v24, 16, v42
	v_cmp_ne_u16_e32 vcc, 0, v22
	v_mov_b32_e32 v11, 0
	s_and_saveexec_b64 s[16:17], vcc
	s_cbranch_execz .LBB0_769
; %bb.764:                              ;   in Loop: Header=BB0_639 Depth=2
	v_cmp_ne_u16_e32 vcc, s61, v22
	v_bfrev_b32_e32 v11, 1
	s_and_saveexec_b64 s[44:45], vcc
	s_cbranch_execz .LBB0_768
; %bb.765:                              ;   in Loop: Header=BB0_639 Depth=2
	v_bfe_u32 v22, v42, 16, 7
	v_cmp_ne_u32_e32 vcc, s62, v22
	v_mov_b32_e32 v11, 0x7f800001
	s_and_saveexec_b64 s[46:47], vcc
	s_cbranch_execz .LBB0_767
; %bb.766:                              ;   in Loop: Header=BB0_639 Depth=2
	v_and_b32_e32 v11, 7, v24
	v_ffbh_u32_e32 v25, v11
	v_min_u32_e32 v33, 32, v25
	v_subrev_u32_e32 v25, 28, v33
	v_lshlrev_b64 v[24:25], v25, v[24:25]
	v_lshrrev_b32_e32 v23, 3, v22
	v_sub_u32_e32 v25, 29, v33
	v_and_b32_e32 v24, 7, v24
	v_cmp_gt_u32_e32 vcc, 8, v22
	v_cndmask_b32_e32 v22, v23, v25, vcc
	v_cndmask_b32_e32 v11, v11, v24, vcc
	v_lshlrev_b32_sdwa v23, v7, v42 dst_sel:DWORD dst_unused:UNUSED_PAD src0_sel:DWORD src1_sel:WORD_1
	v_lshlrev_b32_e32 v11, 20, v11
	v_and_b32_e32 v23, 0x80000000, v23
	v_lshl_add_u32 v22, v22, 23, v47
	v_or3_b32 v11, v23, v22, v11
.LBB0_767:                              ;   in Loop: Header=BB0_639 Depth=2
	s_or_b64 exec, exec, s[46:47]
.LBB0_768:                              ;   in Loop: Header=BB0_639 Depth=2
	s_or_b64 exec, exec, s[44:45]
.LBB0_769:                              ;   in Loop: Header=BB0_639 Depth=2
	s_or_b64 exec, exec, s[16:17]
	v_mul_f32_e32 v48, v62, v11
	v_and_b32_sdwa v11, v48, s61 dst_sel:DWORD dst_unused:UNUSED_PAD src0_sel:BYTE_3 src1_sel:DWORD
	v_and_b32_e32 v22, 0x7f800000, v48
	v_mov_b32_e32 v23, v43
	v_and_b32_e32 v24, 0x7fffff, v48
	v_mov_b32_e32 v25, v43
	v_or_b32_e32 v33, 0x7e, v11
	v_cmp_ne_u64_e32 vcc, s[36:37], v[22:23]
	s_and_saveexec_b64 s[16:17], vcc
	s_xor_b64 s[44:45], exec, s[16:17]
	s_cbranch_execz .LBB0_779
; %bb.770:                              ;   in Loop: Header=BB0_639 Depth=2
	v_and_b32_e32 v22, 0x7fffffff, v48
	v_mov_b32_e32 v23, v43
	v_cmp_gt_u64_e32 vcc, s[38:39], v[22:23]
	s_and_saveexec_b64 s[46:47], vcc
	s_cbranch_execz .LBB0_778
; %bb.771:                              ;   in Loop: Header=BB0_639 Depth=2
	v_cmp_ne_u32_e32 vcc, 0, v48
	v_mov_b32_e32 v33, 0
	s_and_saveexec_b64 s[48:49], vcc
	s_cbranch_execz .LBB0_777
; %bb.772:                              ;   in Loop: Header=BB0_639 Depth=2
	v_bfe_u32 v22, v48, 23, 8
	v_sub_u32_e32 v33, 0x79, v22
	v_cmp_gt_u32_e32 vcc, s63, v22
	v_cndmask_b32_e32 v33, 0, v33, vcc
	v_cmp_eq_u32_e32 vcc, 0, v22
	v_cndmask_b32_e32 v33, v33, v6, vcc
	v_add_u32_e32 v23, 0xffffff81, v22
	v_add_u32_e32 v22, 20, v33
	v_or_b32_e32 v36, 0x800000, v24
	v_cndmask_b32_e32 v37, v23, v30, vcc
	v_lshlrev_b64 v[22:23], v22, -1
	v_cndmask_b32_e32 v24, v36, v24, vcc
	v_not_b32_e32 v22, v22
	v_and_b32_e32 v22, v24, v22
	v_add_u32_e32 v36, 19, v33
	v_lshrrev_b64 v[24:25], v33, v[24:25]
	v_not_b32_e32 v23, v23
	v_lshlrev_b64 v[60:61], v36, 1
	v_lshrrev_b32_e32 v36, 23, v24
	v_and_b32_e32 v23, 0, v23
	v_add3_u32 v49, v33, v37, v36
	v_bfe_u32 v33, v24, 20, 1
	v_add_u32_e32 v33, -1, v33
	v_cmp_eq_u64_e32 vcc, v[22:23], v[60:61]
	v_cndmask_b32_e32 v22, 0, v33, vcc
	v_add_u32_e32 v22, v22, v24
	v_and_b32_e32 v22, 0xfffff, v22
	v_add_co_u32_e32 v24, vcc, v22, v24
	v_add_u32_e32 v48, 6, v49
	v_addc_co_u32_e32 v25, vcc, 0, v25, vcc
	v_cmp_ne_u32_e32 vcc, 0, v48
                                        ; implicit-def: $vgpr33
	s_and_saveexec_b64 s[16:17], vcc
	s_xor_b64 s[16:17], exec, s[16:17]
; %bb.773:                              ;   in Loop: Header=BB0_639 Depth=2
	v_add_u32_e32 v22, 7, v49
	v_cmp_lt_u64_e32 vcc, s[40:41], v[24:25]
	v_cndmask_b32_e32 v33, v48, v22, vcc
	v_cndmask_b32_e64 v22, 0, 1, vcc
	v_lshrrev_b64 v[24:25], v22, v[24:25]
; %bb.774:                              ;   in Loop: Header=BB0_639 Depth=2
	s_andn2_saveexec_b64 s[16:17], s[16:17]
; %bb.775:                              ;   in Loop: Header=BB0_639 Depth=2
	v_bfe_u32 v33, v24, 23, 1
; %bb.776:                              ;   in Loop: Header=BB0_639 Depth=2
	s_or_b64 exec, exec, s[16:17]
	v_lshrrev_b64 v[22:23], 20, v[24:25]
	v_cmp_gt_i32_e32 vcc, 16, v33
	v_cndmask_b32_e32 v23, 0, v23, vcc
	v_cndmask_b32_e32 v22, 7, v22, vcc
	v_cmp_eq_u64_e64 s[16:17], 0, v[22:23]
	v_min_i32_e32 v23, 15, v33
	v_lshlrev_b32_e32 v23, 3, v23
	v_cmp_eq_u32_e32 vcc, 0, v33
	v_and_b32_e32 v23, 0xf8, v23
	v_and_or_b32 v22, v22, 7, v23
	s_and_b64 s[16:17], vcc, s[16:17]
	v_cndmask_b32_e64 v22, v22, 0, s[16:17]
	v_or_b32_e32 v33, v22, v11
.LBB0_777:                              ;   in Loop: Header=BB0_639 Depth=2
	s_or_b64 exec, exec, s[48:49]
.LBB0_778:                              ;   in Loop: Header=BB0_639 Depth=2
	s_or_b64 exec, exec, s[46:47]
                                        ; implicit-def: $vgpr48
                                        ; implicit-def: $vgpr24_vgpr25
.LBB0_779:                              ;   in Loop: Header=BB0_639 Depth=2
	s_andn2_saveexec_b64 s[16:17], s[44:45]
; %bb.780:                              ;   in Loop: Header=BB0_639 Depth=2
	v_or_b32_sdwa v11, v48, s62 dst_sel:DWORD dst_unused:UNUSED_PAD src0_sel:BYTE_3 src1_sel:DWORD
	v_cmp_eq_u64_e32 vcc, 0, v[24:25]
	v_cndmask_b32_e32 v33, v11, v33, vcc
; %bb.781:                              ;   in Loop: Header=BB0_639 Depth=2
	s_or_b64 exec, exec, s[16:17]
	v_cmp_lt_u32_e32 vcc, s64, v42
	v_mov_b32_e32 v11, 0
	s_and_saveexec_b64 s[16:17], vcc
	s_cbranch_execz .LBB0_787
; %bb.782:                              ;   in Loop: Header=BB0_639 Depth=2
	v_lshrrev_b32_e32 v24, 24, v42
	v_cmp_ne_u32_sdwa vcc, v42, s61 src0_sel:BYTE_3 src1_sel:DWORD
	v_bfrev_b32_e32 v11, 1
	s_and_saveexec_b64 s[44:45], vcc
	s_cbranch_execz .LBB0_786
; %bb.783:                              ;   in Loop: Header=BB0_639 Depth=2
	v_bfe_u32 v22, v42, 24, 7
	v_cmp_ne_u32_e32 vcc, s62, v22
	v_mov_b32_e32 v11, 0x7f800001
	s_and_saveexec_b64 s[46:47], vcc
	s_cbranch_execz .LBB0_785
; %bb.784:                              ;   in Loop: Header=BB0_639 Depth=2
	v_and_b32_e32 v11, 7, v24
	v_ffbh_u32_e32 v25, v11
	v_min_u32_e32 v36, 32, v25
	v_subrev_u32_e32 v25, 28, v36
	v_lshlrev_b64 v[24:25], v25, v[24:25]
	v_lshrrev_b32_e32 v23, 3, v22
	v_sub_u32_e32 v25, 29, v36
	v_and_b32_e32 v24, 7, v24
	v_cmp_gt_u32_e32 vcc, 8, v22
	v_cndmask_b32_e32 v22, v23, v25, vcc
	v_cndmask_b32_e32 v11, v11, v24, vcc
	v_lshlrev_b32_sdwa v23, v7, v42 dst_sel:DWORD dst_unused:UNUSED_PAD src0_sel:DWORD src1_sel:BYTE_3
	v_lshlrev_b32_e32 v11, 20, v11
	v_and_b32_e32 v23, 0x80000000, v23
	v_lshl_add_u32 v22, v22, 23, v47
	v_or3_b32 v11, v23, v22, v11
.LBB0_785:                              ;   in Loop: Header=BB0_639 Depth=2
	s_or_b64 exec, exec, s[46:47]
.LBB0_786:                              ;   in Loop: Header=BB0_639 Depth=2
	s_or_b64 exec, exec, s[44:45]
.LBB0_787:                              ;   in Loop: Header=BB0_639 Depth=2
	s_or_b64 exec, exec, s[16:17]
	v_mul_f32_e32 v24, v62, v11
	v_and_b32_sdwa v11, v24, s61 dst_sel:DWORD dst_unused:UNUSED_PAD src0_sel:BYTE_3 src1_sel:DWORD
	v_and_b32_e32 v22, 0x7f800000, v24
	v_mov_b32_e32 v23, v43
	v_and_b32_e32 v42, 0x7fffff, v24
	v_or_b32_e32 v48, 0x7e, v11
	v_cmp_ne_u64_e32 vcc, s[36:37], v[22:23]
	s_and_saveexec_b64 s[16:17], vcc
	s_xor_b64 s[44:45], exec, s[16:17]
	s_cbranch_execz .LBB0_797
; %bb.788:                              ;   in Loop: Header=BB0_639 Depth=2
	v_and_b32_e32 v22, 0x7fffffff, v24
	v_mov_b32_e32 v23, v43
	v_cmp_gt_u64_e32 vcc, s[38:39], v[22:23]
	s_and_saveexec_b64 s[46:47], vcc
	s_cbranch_execz .LBB0_796
; %bb.789:                              ;   in Loop: Header=BB0_639 Depth=2
	v_cmp_ne_u32_e32 vcc, 0, v24
	v_mov_b32_e32 v48, 0
	s_and_saveexec_b64 s[48:49], vcc
	s_cbranch_execz .LBB0_795
; %bb.790:                              ;   in Loop: Header=BB0_639 Depth=2
	v_bfe_u32 v22, v24, 23, 8
	v_sub_u32_e32 v24, 0x79, v22
	v_cmp_gt_u32_e32 vcc, s63, v22
	v_cndmask_b32_e32 v24, 0, v24, vcc
	v_cmp_eq_u32_e32 vcc, 0, v22
	v_or_b32_e32 v25, 0x800000, v42
	v_cndmask_b32_e32 v37, v24, v6, vcc
	v_add_u32_e32 v23, 0xffffff81, v22
	v_cndmask_b32_e32 v42, v25, v42, vcc
	v_add_u32_e32 v22, 20, v37
	v_cndmask_b32_e32 v36, v23, v30, vcc
	v_lshlrev_b64 v[22:23], v22, -1
	v_lshrrev_b64 v[60:61], v37, v[42:43]
	v_not_b32_e32 v23, v23
	v_not_b32_e32 v22, v22
	v_add_u32_e32 v24, 19, v37
	v_lshrrev_b32_e32 v48, 23, v60
	v_and_b32_e32 v23, 0, v23
	v_and_b32_e32 v22, v42, v22
	v_lshlrev_b64 v[24:25], v24, 1
	v_add3_u32 v42, v37, v36, v48
	v_bfe_u32 v36, v60, 20, 1
	v_add_u32_e32 v36, -1, v36
	v_cmp_eq_u64_e32 vcc, v[22:23], v[24:25]
	v_cndmask_b32_e32 v22, 0, v36, vcc
	v_add_u32_e32 v22, v22, v60
	v_and_b32_e32 v22, 0xfffff, v22
	v_add_co_u32_e32 v24, vcc, v22, v60
	v_add_u32_e32 v49, 6, v42
	v_addc_co_u32_e32 v25, vcc, 0, v61, vcc
	v_cmp_ne_u32_e32 vcc, 0, v49
                                        ; implicit-def: $vgpr48
	s_and_saveexec_b64 s[16:17], vcc
	s_xor_b64 s[16:17], exec, s[16:17]
; %bb.791:                              ;   in Loop: Header=BB0_639 Depth=2
	v_add_u32_e32 v22, 7, v42
	v_cmp_lt_u64_e32 vcc, s[40:41], v[24:25]
	v_cndmask_b32_e32 v48, v49, v22, vcc
	v_cndmask_b32_e64 v22, 0, 1, vcc
	v_lshrrev_b64 v[24:25], v22, v[24:25]
; %bb.792:                              ;   in Loop: Header=BB0_639 Depth=2
	s_andn2_saveexec_b64 s[16:17], s[16:17]
; %bb.793:                              ;   in Loop: Header=BB0_639 Depth=2
	v_bfe_u32 v48, v24, 23, 1
; %bb.794:                              ;   in Loop: Header=BB0_639 Depth=2
	s_or_b64 exec, exec, s[16:17]
	v_lshrrev_b64 v[22:23], 20, v[24:25]
	v_cmp_gt_i32_e32 vcc, 16, v48
	v_cndmask_b32_e32 v23, 0, v23, vcc
	v_cndmask_b32_e32 v22, 7, v22, vcc
	v_cmp_eq_u64_e64 s[16:17], 0, v[22:23]
	v_min_i32_e32 v23, 15, v48
	v_lshlrev_b32_e32 v23, 3, v23
	v_cmp_eq_u32_e32 vcc, 0, v48
	v_and_b32_e32 v23, 0xf8, v23
	v_and_or_b32 v22, v22, 7, v23
	s_and_b64 s[16:17], vcc, s[16:17]
	v_cndmask_b32_e64 v22, v22, 0, s[16:17]
	v_or_b32_e32 v48, v22, v11
.LBB0_795:                              ;   in Loop: Header=BB0_639 Depth=2
	s_or_b64 exec, exec, s[48:49]
.LBB0_796:                              ;   in Loop: Header=BB0_639 Depth=2
	s_or_b64 exec, exec, s[46:47]
                                        ; implicit-def: $vgpr24
.LBB0_797:                              ;   in Loop: Header=BB0_639 Depth=2
	s_andn2_saveexec_b64 s[16:17], s[44:45]
; %bb.798:                              ;   in Loop: Header=BB0_639 Depth=2
	v_or_b32_sdwa v11, v24, s62 dst_sel:DWORD dst_unused:UNUSED_PAD src0_sel:BYTE_3 src1_sel:DWORD
	v_cmp_eq_u64_e32 vcc, 0, v[42:43]
	v_cndmask_b32_e32 v48, v11, v48, vcc
; %bb.799:                              ;   in Loop: Header=BB0_639 Depth=2
	s_or_b64 exec, exec, s[16:17]
	s_waitcnt vmcnt(0)
	v_cmp_ne_u16_sdwa vcc, v2, v43 src0_sel:BYTE_0 src1_sel:DWORD
	v_mov_b32_e32 v24, 0
	v_mov_b32_e32 v11, 0
	s_and_saveexec_b64 s[16:17], vcc
	s_cbranch_execz .LBB0_805
; %bb.800:                              ;   in Loop: Header=BB0_639 Depth=2
	v_cmp_ne_u16_sdwa vcc, v2, s61 src0_sel:BYTE_0 src1_sel:DWORD
	v_bfrev_b32_e32 v11, 1
	s_and_saveexec_b64 s[44:45], vcc
	s_cbranch_execz .LBB0_804
; %bb.801:                              ;   in Loop: Header=BB0_639 Depth=2
	v_and_b32_e32 v22, 0x7f, v2
	v_cmp_ne_u32_e32 vcc, s62, v22
	v_mov_b32_e32 v11, 0x7f800001
	s_and_saveexec_b64 s[46:47], vcc
	s_cbranch_execz .LBB0_803
; %bb.802:                              ;   in Loop: Header=BB0_639 Depth=2
	v_and_b32_e32 v11, 7, v2
	v_ffbh_u32_e32 v11, v11
	v_min_u32_e32 v11, 32, v11
	v_subrev_u32_e32 v25, 28, v11
	v_cmp_gt_u32_e32 vcc, 8, v22
	v_lshrrev_b32_e32 v23, 3, v22
	v_sub_u32_e32 v11, 29, v11
	v_cndmask_b32_e32 v22, 0, v25, vcc
	v_cndmask_b32_e32 v11, v23, v11, vcc
	v_lshlrev_b64 v[22:23], v22, v[2:3]
	v_lshlrev_b32_e32 v3, 20, v22
	v_lshlrev_b32_e32 v22, 24, v2
	v_and_b32_e32 v3, 0x700000, v3
	v_and_b32_e32 v22, 0x80000000, v22
	v_lshl_add_u32 v11, v11, 23, v47
	v_or3_b32 v11, v22, v11, v3
.LBB0_803:                              ;   in Loop: Header=BB0_639 Depth=2
	s_or_b64 exec, exec, s[46:47]
.LBB0_804:                              ;   in Loop: Header=BB0_639 Depth=2
	s_or_b64 exec, exec, s[44:45]
.LBB0_805:                              ;   in Loop: Header=BB0_639 Depth=2
	s_or_b64 exec, exec, s[16:17]
	v_lshlrev_b32_e32 v3, 8, v31
	v_cmp_ne_u16_sdwa vcc, v8, v43 src0_sel:BYTE_0 src1_sel:DWORD
	s_and_saveexec_b64 s[16:17], vcc
	s_cbranch_execz .LBB0_811
; %bb.806:                              ;   in Loop: Header=BB0_639 Depth=2
	v_cmp_ne_u16_sdwa vcc, v8, s61 src0_sel:BYTE_0 src1_sel:DWORD
	v_bfrev_b32_e32 v24, 1
	s_and_saveexec_b64 s[44:45], vcc
	s_cbranch_execz .LBB0_810
; %bb.807:                              ;   in Loop: Header=BB0_639 Depth=2
	v_and_b32_e32 v22, 0x7f, v8
	v_cmp_ne_u32_e32 vcc, s62, v22
	v_mov_b32_e32 v24, 0x7f800001
	s_and_saveexec_b64 s[46:47], vcc
	s_cbranch_execz .LBB0_809
; %bb.808:                              ;   in Loop: Header=BB0_639 Depth=2
	v_and_b32_e32 v23, 7, v8
	v_ffbh_u32_e32 v23, v23
	v_min_u32_e32 v23, 32, v23
	v_lshrrev_b32_e32 v25, 3, v22
	v_subrev_u32_e32 v31, 28, v23
	v_sub_u32_e32 v23, 29, v23
	v_cmp_gt_u32_e32 vcc, 8, v22
	v_perm_b32 v24, v3, v8, s65
	v_cndmask_b32_e32 v25, v25, v23, vcc
	v_cndmask_b32_e32 v22, 0, v31, vcc
	v_lshlrev_b64 v[22:23], v22, v[24:25]
	v_lshlrev_b32_e32 v22, 20, v22
	v_lshlrev_b32_e32 v8, 24, v8
	v_and_b32_e32 v22, 0x700000, v22
	v_and_b32_e32 v8, 0x80000000, v8
	v_lshl_add_u32 v23, v25, 23, v47
	v_or3_b32 v24, v8, v23, v22
.LBB0_809:                              ;   in Loop: Header=BB0_639 Depth=2
	s_or_b64 exec, exec, s[46:47]
.LBB0_810:                              ;   in Loop: Header=BB0_639 Depth=2
	s_or_b64 exec, exec, s[44:45]
.LBB0_811:                              ;   in Loop: Header=BB0_639 Depth=2
	s_or_b64 exec, exec, s[16:17]
	v_add_f32_e32 v24, v11, v24
	v_and_b32_sdwa v11, v24, s61 dst_sel:DWORD dst_unused:UNUSED_PAD src0_sel:BYTE_3 src1_sel:DWORD
	v_and_b32_e32 v22, 0x7f800000, v24
	v_mov_b32_e32 v23, v43
	v_and_b32_e32 v42, 0x7fffff, v24
	v_or_b32_e32 v8, 0x7e, v11
	v_cmp_ne_u64_e32 vcc, s[36:37], v[22:23]
	s_and_saveexec_b64 s[16:17], vcc
	s_xor_b64 s[44:45], exec, s[16:17]
	s_cbranch_execz .LBB0_821
; %bb.812:                              ;   in Loop: Header=BB0_639 Depth=2
	v_and_b32_e32 v22, 0x7fffffff, v24
	v_mov_b32_e32 v23, v43
	v_cmp_gt_u64_e32 vcc, s[38:39], v[22:23]
	s_and_saveexec_b64 s[46:47], vcc
	s_cbranch_execz .LBB0_820
; %bb.813:                              ;   in Loop: Header=BB0_639 Depth=2
	v_cmp_ne_u32_e32 vcc, 0, v24
	v_mov_b32_e32 v8, 0
	s_and_saveexec_b64 s[48:49], vcc
	s_cbranch_execz .LBB0_819
; %bb.814:                              ;   in Loop: Header=BB0_639 Depth=2
	v_bfe_u32 v8, v24, 23, 8
	v_sub_u32_e32 v23, 0x79, v8
	v_cmp_gt_u32_e32 vcc, s63, v8
	v_cndmask_b32_e32 v23, 0, v23, vcc
	v_cmp_eq_u32_e32 vcc, 0, v8
	v_add_u32_e32 v22, 0xffffff81, v8
	v_or_b32_e32 v24, 0x800000, v42
	v_cndmask_b32_e32 v31, v23, v6, vcc
	v_cndmask_b32_e32 v8, v22, v30, vcc
	;; [unrolled: 1-line block ×3, first 2 shown]
	v_add_u32_e32 v22, 20, v31
	v_lshlrev_b64 v[22:23], v22, -1
	v_lshrrev_b64 v[60:61], v31, v[42:43]
	v_not_b32_e32 v23, v23
	v_not_b32_e32 v22, v22
	v_add_u32_e32 v24, 19, v31
	v_lshrrev_b32_e32 v36, 23, v60
	v_and_b32_e32 v23, 0, v23
	v_and_b32_e32 v22, v42, v22
	v_lshlrev_b64 v[24:25], v24, 1
	v_add3_u32 v49, v31, v8, v36
	v_bfe_u32 v8, v60, 20, 1
	v_add_u32_e32 v8, -1, v8
	v_cmp_eq_u64_e32 vcc, v[22:23], v[24:25]
	v_cndmask_b32_e32 v8, 0, v8, vcc
	v_add_u32_e32 v8, v8, v60
	v_and_b32_e32 v8, 0xfffff, v8
	v_add_co_u32_e32 v24, vcc, v8, v60
	v_add_u32_e32 v31, 6, v49
	v_addc_co_u32_e32 v25, vcc, 0, v61, vcc
	v_cmp_ne_u32_e32 vcc, 0, v31
                                        ; implicit-def: $vgpr8
	s_and_saveexec_b64 s[16:17], vcc
	s_xor_b64 s[16:17], exec, s[16:17]
; %bb.815:                              ;   in Loop: Header=BB0_639 Depth=2
	v_cmp_lt_u64_e32 vcc, s[40:41], v[24:25]
	v_add_u32_e32 v8, 7, v49
	v_cndmask_b32_e64 v22, 0, 1, vcc
	v_cndmask_b32_e32 v8, v31, v8, vcc
	v_lshrrev_b64 v[24:25], v22, v[24:25]
; %bb.816:                              ;   in Loop: Header=BB0_639 Depth=2
	s_andn2_saveexec_b64 s[16:17], s[16:17]
; %bb.817:                              ;   in Loop: Header=BB0_639 Depth=2
	v_bfe_u32 v8, v24, 23, 1
; %bb.818:                              ;   in Loop: Header=BB0_639 Depth=2
	s_or_b64 exec, exec, s[16:17]
	v_lshrrev_b64 v[22:23], 20, v[24:25]
	v_cmp_gt_i32_e32 vcc, 16, v8
	v_cndmask_b32_e32 v23, 0, v23, vcc
	v_cndmask_b32_e32 v22, 7, v22, vcc
	v_cmp_eq_u32_e32 vcc, 0, v8
	v_min_i32_e32 v8, 15, v8
	v_cmp_eq_u64_e64 s[16:17], 0, v[22:23]
	v_lshlrev_b32_e32 v8, 3, v8
	v_and_or_b32 v8, v22, 7, v8
	s_and_b64 s[16:17], vcc, s[16:17]
	v_cndmask_b32_e64 v8, v8, 0, s[16:17]
	v_or_b32_e32 v8, v8, v11
.LBB0_819:                              ;   in Loop: Header=BB0_639 Depth=2
	s_or_b64 exec, exec, s[48:49]
.LBB0_820:                              ;   in Loop: Header=BB0_639 Depth=2
	s_or_b64 exec, exec, s[46:47]
                                        ; implicit-def: $vgpr24
.LBB0_821:                              ;   in Loop: Header=BB0_639 Depth=2
	s_andn2_saveexec_b64 s[16:17], s[44:45]
; %bb.822:                              ;   in Loop: Header=BB0_639 Depth=2
	v_or_b32_sdwa v11, v24, s62 dst_sel:DWORD dst_unused:UNUSED_PAD src0_sel:BYTE_3 src1_sel:DWORD
	v_cmp_eq_u64_e32 vcc, 0, v[42:43]
	v_cndmask_b32_e32 v8, v11, v8, vcc
; %bb.823:                              ;   in Loop: Header=BB0_639 Depth=2
	s_or_b64 exec, exec, s[16:17]
	v_lshrrev_b16_e32 v24, 8, v2
	v_cmp_ne_u16_e32 vcc, 0, v24
	v_mov_b32_e32 v11, 0
	v_mov_b32_e32 v25, 0
	s_and_saveexec_b64 s[16:17], vcc
	s_cbranch_execz .LBB0_829
; %bb.824:                              ;   in Loop: Header=BB0_639 Depth=2
	v_cmp_ne_u16_e32 vcc, s61, v24
	v_bfrev_b32_e32 v25, 1
	s_and_saveexec_b64 s[44:45], vcc
	s_cbranch_execz .LBB0_828
; %bb.825:                              ;   in Loop: Header=BB0_639 Depth=2
	v_and_b32_e32 v22, 0x7f, v24
	v_cmp_ne_u32_e32 vcc, s62, v22
	v_mov_b32_e32 v25, 0x7f800001
	s_and_saveexec_b64 s[46:47], vcc
	s_cbranch_execz .LBB0_827
; %bb.826:                              ;   in Loop: Header=BB0_639 Depth=2
	v_and_b32_e32 v23, 7, v24
	v_ffbh_u32_e32 v25, v23
	v_min_u32_e32 v36, 32, v25
	v_subrev_u32_e32 v25, 28, v36
	v_lshlrev_b64 v[24:25], v25, v[24:25]
	v_lshrrev_b32_e32 v31, 3, v22
	v_sub_u32_e32 v25, 29, v36
	v_and_b32_e32 v24, 7, v24
	v_cmp_gt_u32_e32 vcc, 8, v22
	v_cndmask_b32_e32 v22, v31, v25, vcc
	v_cndmask_b32_e32 v23, v23, v24, vcc
	v_lshlrev_b32_e32 v24, 16, v2
	v_lshlrev_b32_e32 v23, 20, v23
	v_and_b32_e32 v24, 0x80000000, v24
	v_lshl_add_u32 v22, v22, 23, v47
	v_or3_b32 v25, v24, v22, v23
.LBB0_827:                              ;   in Loop: Header=BB0_639 Depth=2
	s_or_b64 exec, exec, s[46:47]
.LBB0_828:                              ;   in Loop: Header=BB0_639 Depth=2
	s_or_b64 exec, exec, s[44:45]
.LBB0_829:                              ;   in Loop: Header=BB0_639 Depth=2
	s_or_b64 exec, exec, s[16:17]
	v_lshrrev_b16_e32 v24, 8, v3
	v_cmp_ne_u16_e32 vcc, 0, v24
	s_and_saveexec_b64 s[16:17], vcc
	s_cbranch_execz .LBB0_835
; %bb.830:                              ;   in Loop: Header=BB0_639 Depth=2
	v_cmp_ne_u16_e32 vcc, s61, v24
	v_bfrev_b32_e32 v11, 1
	s_and_saveexec_b64 s[44:45], vcc
	s_cbranch_execz .LBB0_834
; %bb.831:                              ;   in Loop: Header=BB0_639 Depth=2
	v_and_b32_e32 v22, 0x7f, v24
	v_cmp_ne_u32_e32 vcc, s62, v22
	v_mov_b32_e32 v11, 0x7f800001
	s_and_saveexec_b64 s[46:47], vcc
	s_cbranch_execz .LBB0_833
; %bb.832:                              ;   in Loop: Header=BB0_639 Depth=2
	v_and_b32_e32 v11, 7, v24
	v_ffbh_u32_e32 v31, v11
	v_min_u32_e32 v31, 32, v31
	v_subrev_u32_e32 v36, 28, v31
	v_lshlrev_b64 v[60:61], v36, v[24:25]
	v_lshrrev_b32_e32 v23, 3, v22
	v_sub_u32_e32 v24, 29, v31
	v_and_b32_e32 v31, 7, v60
	v_cmp_gt_u32_e32 vcc, 8, v22
	v_cndmask_b32_e32 v22, v23, v24, vcc
	v_cndmask_b32_e32 v11, v11, v31, vcc
	v_lshlrev_b32_e32 v3, 16, v3
	v_lshlrev_b32_e32 v11, 20, v11
	v_and_b32_e32 v3, 0x80000000, v3
	v_lshl_add_u32 v22, v22, 23, v47
	v_or3_b32 v11, v3, v22, v11
.LBB0_833:                              ;   in Loop: Header=BB0_639 Depth=2
	s_or_b64 exec, exec, s[46:47]
.LBB0_834:                              ;   in Loop: Header=BB0_639 Depth=2
	s_or_b64 exec, exec, s[44:45]
.LBB0_835:                              ;   in Loop: Header=BB0_639 Depth=2
	s_or_b64 exec, exec, s[16:17]
	v_add_f32_e32 v11, v25, v11
	v_and_b32_sdwa v3, v11, s61 dst_sel:DWORD dst_unused:UNUSED_PAD src0_sel:BYTE_3 src1_sel:DWORD
	v_and_b32_e32 v22, 0x7f800000, v11
	v_mov_b32_e32 v23, v43
	v_and_b32_e32 v42, 0x7fffff, v11
	v_or_b32_e32 v25, 0x7e, v3
	v_cmp_ne_u64_e32 vcc, s[36:37], v[22:23]
	s_and_saveexec_b64 s[16:17], vcc
	s_xor_b64 s[44:45], exec, s[16:17]
	s_cbranch_execz .LBB0_845
; %bb.836:                              ;   in Loop: Header=BB0_639 Depth=2
	v_and_b32_e32 v22, 0x7fffffff, v11
	v_mov_b32_e32 v23, v43
	v_cmp_gt_u64_e32 vcc, s[38:39], v[22:23]
	s_and_saveexec_b64 s[46:47], vcc
	s_cbranch_execz .LBB0_844
; %bb.837:                              ;   in Loop: Header=BB0_639 Depth=2
	v_cmp_ne_u32_e32 vcc, 0, v11
	v_mov_b32_e32 v25, 0
	s_and_saveexec_b64 s[48:49], vcc
	s_cbranch_execz .LBB0_843
; %bb.838:                              ;   in Loop: Header=BB0_639 Depth=2
	v_bfe_u32 v11, v11, 23, 8
	v_sub_u32_e32 v23, 0x79, v11
	v_cmp_gt_u32_e32 vcc, s63, v11
	v_cndmask_b32_e32 v23, 0, v23, vcc
	v_cmp_eq_u32_e32 vcc, 0, v11
	v_add_u32_e32 v22, 0xffffff81, v11
	v_or_b32_e32 v24, 0x800000, v42
	v_cndmask_b32_e32 v31, v23, v6, vcc
	v_cndmask_b32_e32 v11, v22, v30, vcc
	;; [unrolled: 1-line block ×3, first 2 shown]
	v_add_u32_e32 v22, 20, v31
	v_lshlrev_b64 v[22:23], v22, -1
	v_lshrrev_b64 v[60:61], v31, v[42:43]
	v_not_b32_e32 v23, v23
	v_not_b32_e32 v22, v22
	v_add_u32_e32 v24, 19, v31
	v_lshrrev_b32_e32 v36, 23, v60
	v_and_b32_e32 v23, 0, v23
	v_and_b32_e32 v22, v42, v22
	v_lshlrev_b64 v[24:25], v24, 1
	v_add3_u32 v49, v31, v11, v36
	v_bfe_u32 v11, v60, 20, 1
	v_add_u32_e32 v11, -1, v11
	v_cmp_eq_u64_e32 vcc, v[22:23], v[24:25]
	v_cndmask_b32_e32 v11, 0, v11, vcc
	v_add_u32_e32 v11, v11, v60
	v_and_b32_e32 v11, 0xfffff, v11
	v_add_co_u32_e32 v24, vcc, v11, v60
	v_add_u32_e32 v31, 6, v49
	v_addc_co_u32_e32 v25, vcc, 0, v61, vcc
	v_cmp_ne_u32_e32 vcc, 0, v31
                                        ; implicit-def: $vgpr11
	s_and_saveexec_b64 s[16:17], vcc
	s_xor_b64 s[16:17], exec, s[16:17]
; %bb.839:                              ;   in Loop: Header=BB0_639 Depth=2
	v_cmp_lt_u64_e32 vcc, s[40:41], v[24:25]
	v_add_u32_e32 v11, 7, v49
	v_cndmask_b32_e64 v22, 0, 1, vcc
	v_cndmask_b32_e32 v11, v31, v11, vcc
	v_lshrrev_b64 v[24:25], v22, v[24:25]
; %bb.840:                              ;   in Loop: Header=BB0_639 Depth=2
	s_andn2_saveexec_b64 s[16:17], s[16:17]
; %bb.841:                              ;   in Loop: Header=BB0_639 Depth=2
	v_bfe_u32 v11, v24, 23, 1
; %bb.842:                              ;   in Loop: Header=BB0_639 Depth=2
	s_or_b64 exec, exec, s[16:17]
	v_lshrrev_b64 v[22:23], 20, v[24:25]
	v_cmp_gt_i32_e32 vcc, 16, v11
	v_cndmask_b32_e32 v23, 0, v23, vcc
	v_cndmask_b32_e32 v22, 7, v22, vcc
	v_cmp_eq_u32_e32 vcc, 0, v11
	v_min_i32_e32 v11, 15, v11
	v_cmp_eq_u64_e64 s[16:17], 0, v[22:23]
	v_lshlrev_b32_e32 v11, 3, v11
	v_and_or_b32 v11, v22, 7, v11
	s_and_b64 s[16:17], vcc, s[16:17]
	v_cndmask_b32_e64 v11, v11, 0, s[16:17]
	v_or_b32_e32 v25, v11, v3
.LBB0_843:                              ;   in Loop: Header=BB0_639 Depth=2
	s_or_b64 exec, exec, s[48:49]
.LBB0_844:                              ;   in Loop: Header=BB0_639 Depth=2
	s_or_b64 exec, exec, s[46:47]
                                        ; implicit-def: $vgpr11
.LBB0_845:                              ;   in Loop: Header=BB0_639 Depth=2
	s_andn2_saveexec_b64 s[16:17], s[44:45]
; %bb.846:                              ;   in Loop: Header=BB0_639 Depth=2
	v_or_b32_sdwa v3, v11, s62 dst_sel:DWORD dst_unused:UNUSED_PAD src0_sel:BYTE_3 src1_sel:DWORD
	v_cmp_eq_u64_e32 vcc, 0, v[42:43]
	v_cndmask_b32_e32 v25, v3, v25, vcc
; %bb.847:                              ;   in Loop: Header=BB0_639 Depth=2
	s_or_b64 exec, exec, s[16:17]
	v_lshrrev_b32_e32 v24, 16, v2
	v_cmp_ne_u16_sdwa vcc, v24, v43 src0_sel:BYTE_0 src1_sel:DWORD
	v_mov_b32_e32 v3, 0
	v_mov_b32_e32 v11, 0
	s_and_saveexec_b64 s[16:17], vcc
	s_cbranch_execz .LBB0_853
; %bb.848:                              ;   in Loop: Header=BB0_639 Depth=2
	v_cmp_ne_u16_sdwa vcc, v24, s61 src0_sel:BYTE_0 src1_sel:DWORD
	v_bfrev_b32_e32 v11, 1
	s_and_saveexec_b64 s[44:45], vcc
	s_cbranch_execz .LBB0_852
; %bb.849:                              ;   in Loop: Header=BB0_639 Depth=2
	v_bfe_u32 v22, v2, 16, 7
	v_cmp_ne_u32_e32 vcc, s62, v22
	v_mov_b32_e32 v11, 0x7f800001
	s_and_saveexec_b64 s[46:47], vcc
	s_cbranch_execz .LBB0_851
; %bb.850:                              ;   in Loop: Header=BB0_639 Depth=2
	v_and_b32_e32 v11, 7, v24
	v_ffbh_u32_e32 v31, v11
	v_min_u32_e32 v31, 32, v31
	v_subrev_u32_e32 v36, 28, v31
	v_lshlrev_b64 v[60:61], v36, v[24:25]
	v_lshrrev_b32_e32 v23, 3, v22
	v_sub_u32_e32 v31, 29, v31
	v_and_b32_e32 v36, 7, v60
	v_cmp_gt_u32_e32 vcc, 8, v22
	v_cndmask_b32_e32 v22, v23, v31, vcc
	v_cndmask_b32_e32 v11, v11, v36, vcc
	v_lshlrev_b32_e32 v23, 24, v24
	v_lshlrev_b32_e32 v11, 20, v11
	v_and_b32_e32 v23, 0x80000000, v23
	v_lshl_add_u32 v22, v22, 23, v47
	v_or3_b32 v11, v23, v22, v11
.LBB0_851:                              ;   in Loop: Header=BB0_639 Depth=2
	s_or_b64 exec, exec, s[46:47]
.LBB0_852:                              ;   in Loop: Header=BB0_639 Depth=2
	s_or_b64 exec, exec, s[44:45]
.LBB0_853:                              ;   in Loop: Header=BB0_639 Depth=2
	s_or_b64 exec, exec, s[16:17]
	v_cmp_ne_u16_sdwa vcc, v10, v43 src0_sel:BYTE_0 src1_sel:DWORD
	s_and_saveexec_b64 s[16:17], vcc
	s_cbranch_execz .LBB0_859
; %bb.854:                              ;   in Loop: Header=BB0_639 Depth=2
	v_cmp_ne_u16_sdwa vcc, v10, s61 src0_sel:BYTE_0 src1_sel:DWORD
	v_bfrev_b32_e32 v3, 1
	s_and_saveexec_b64 s[44:45], vcc
	s_cbranch_execz .LBB0_858
; %bb.855:                              ;   in Loop: Header=BB0_639 Depth=2
	v_and_b32_e32 v22, 0x7f, v10
	v_cmp_ne_u32_e32 vcc, s62, v22
	v_mov_b32_e32 v3, 0x7f800001
	s_and_saveexec_b64 s[46:47], vcc
	s_cbranch_execz .LBB0_857
; %bb.856:                              ;   in Loop: Header=BB0_639 Depth=2
	v_and_b32_e32 v3, 7, v10
	v_ffbh_u32_e32 v24, v3
	v_min_u32_e32 v24, 32, v24
	v_subrev_u32_e32 v31, 28, v24
	v_lshlrev_b64 v[60:61], v31, v[10:11]
	v_lshrrev_b32_e32 v23, 3, v22
	v_sub_u32_e32 v24, 29, v24
	v_and_b32_e32 v31, 7, v60
	v_cmp_gt_u32_e32 vcc, 8, v22
	v_cndmask_b32_e32 v22, v23, v24, vcc
	v_cndmask_b32_e32 v3, v3, v31, vcc
	v_lshlrev_b32_e32 v10, 24, v10
	v_lshlrev_b32_e32 v3, 20, v3
	v_and_b32_e32 v10, 0x80000000, v10
	v_lshl_add_u32 v22, v22, 23, v47
	v_or3_b32 v3, v10, v22, v3
.LBB0_857:                              ;   in Loop: Header=BB0_639 Depth=2
	s_or_b64 exec, exec, s[46:47]
.LBB0_858:                              ;   in Loop: Header=BB0_639 Depth=2
	s_or_b64 exec, exec, s[44:45]
.LBB0_859:                              ;   in Loop: Header=BB0_639 Depth=2
	s_or_b64 exec, exec, s[16:17]
	v_add_f32_e32 v10, v11, v3
	v_and_b32_sdwa v3, v10, s61 dst_sel:DWORD dst_unused:UNUSED_PAD src0_sel:BYTE_3 src1_sel:DWORD
	v_and_b32_e32 v22, 0x7f800000, v10
	v_mov_b32_e32 v23, v43
	v_and_b32_e32 v42, 0x7fffff, v10
	v_or_b32_e32 v11, 0x7e, v3
	v_cmp_ne_u64_e32 vcc, s[36:37], v[22:23]
	s_and_saveexec_b64 s[16:17], vcc
	s_xor_b64 s[44:45], exec, s[16:17]
	s_cbranch_execz .LBB0_869
; %bb.860:                              ;   in Loop: Header=BB0_639 Depth=2
	v_and_b32_e32 v22, 0x7fffffff, v10
	v_mov_b32_e32 v23, v43
	v_cmp_gt_u64_e32 vcc, s[38:39], v[22:23]
	s_and_saveexec_b64 s[46:47], vcc
	s_cbranch_execz .LBB0_868
; %bb.861:                              ;   in Loop: Header=BB0_639 Depth=2
	v_cmp_ne_u32_e32 vcc, 0, v10
	v_mov_b32_e32 v11, 0
	s_and_saveexec_b64 s[48:49], vcc
	s_cbranch_execz .LBB0_867
; %bb.862:                              ;   in Loop: Header=BB0_639 Depth=2
	v_bfe_u32 v10, v10, 23, 8
	v_sub_u32_e32 v22, 0x79, v10
	v_cmp_gt_u32_e32 vcc, s63, v10
	v_cndmask_b32_e32 v22, 0, v22, vcc
	v_cmp_eq_u32_e32 vcc, 0, v10
	v_or_b32_e32 v23, 0x800000, v42
	v_cndmask_b32_e32 v31, v22, v6, vcc
	v_add_u32_e32 v11, 0xffffff81, v10
	v_cndmask_b32_e32 v42, v23, v42, vcc
	v_add_u32_e32 v10, 20, v31
	v_cndmask_b32_e32 v24, v11, v30, vcc
	v_lshlrev_b64 v[10:11], v10, -1
	v_lshrrev_b64 v[60:61], v31, v[42:43]
	v_not_b32_e32 v11, v11
	v_not_b32_e32 v10, v10
	v_add_u32_e32 v22, 19, v31
	v_lshrrev_b32_e32 v36, 23, v60
	v_and_b32_e32 v11, 0, v11
	v_and_b32_e32 v10, v42, v10
	v_lshlrev_b64 v[22:23], v22, 1
	v_add3_u32 v49, v31, v24, v36
	v_bfe_u32 v24, v60, 20, 1
	v_add_u32_e32 v24, -1, v24
	v_cmp_eq_u64_e32 vcc, v[10:11], v[22:23]
	v_cndmask_b32_e32 v10, 0, v24, vcc
	v_add_u32_e32 v10, v10, v60
	v_and_b32_e32 v10, 0xfffff, v10
	v_add_co_u32_e32 v10, vcc, v10, v60
	v_add_u32_e32 v31, 6, v49
	v_addc_co_u32_e32 v11, vcc, 0, v61, vcc
	v_cmp_ne_u32_e32 vcc, 0, v31
                                        ; implicit-def: $vgpr24
	s_and_saveexec_b64 s[16:17], vcc
	s_xor_b64 s[16:17], exec, s[16:17]
; %bb.863:                              ;   in Loop: Header=BB0_639 Depth=2
	v_add_u32_e32 v22, 7, v49
	v_cmp_lt_u64_e32 vcc, s[40:41], v[10:11]
	v_cndmask_b32_e32 v24, v31, v22, vcc
	v_cndmask_b32_e64 v22, 0, 1, vcc
	v_lshrrev_b64 v[10:11], v22, v[10:11]
; %bb.864:                              ;   in Loop: Header=BB0_639 Depth=2
	s_andn2_saveexec_b64 s[16:17], s[16:17]
; %bb.865:                              ;   in Loop: Header=BB0_639 Depth=2
	v_bfe_u32 v24, v10, 23, 1
; %bb.866:                              ;   in Loop: Header=BB0_639 Depth=2
	s_or_b64 exec, exec, s[16:17]
	v_lshrrev_b64 v[10:11], 20, v[10:11]
	v_cmp_gt_i32_e32 vcc, 16, v24
	v_cndmask_b32_e32 v11, 0, v11, vcc
	v_cndmask_b32_e32 v10, 7, v10, vcc
	v_cmp_eq_u64_e64 s[16:17], 0, v[10:11]
	v_min_i32_e32 v11, 15, v24
	v_cmp_eq_u32_e32 vcc, 0, v24
	v_lshlrev_b32_e32 v11, 3, v11
	v_and_or_b32 v10, v10, 7, v11
	s_and_b64 s[16:17], vcc, s[16:17]
	v_cndmask_b32_e64 v10, v10, 0, s[16:17]
	v_or_b32_e32 v11, v10, v3
.LBB0_867:                              ;   in Loop: Header=BB0_639 Depth=2
	s_or_b64 exec, exec, s[48:49]
.LBB0_868:                              ;   in Loop: Header=BB0_639 Depth=2
	s_or_b64 exec, exec, s[46:47]
                                        ; implicit-def: $vgpr10
.LBB0_869:                              ;   in Loop: Header=BB0_639 Depth=2
	s_andn2_saveexec_b64 s[16:17], s[44:45]
; %bb.870:                              ;   in Loop: Header=BB0_639 Depth=2
	v_or_b32_sdwa v3, v10, s62 dst_sel:DWORD dst_unused:UNUSED_PAD src0_sel:BYTE_3 src1_sel:DWORD
	v_cmp_eq_u64_e32 vcc, 0, v[42:43]
	v_cndmask_b32_e32 v11, v3, v11, vcc
; %bb.871:                              ;   in Loop: Header=BB0_639 Depth=2
	s_or_b64 exec, exec, s[16:17]
	v_cmp_lt_u32_e32 vcc, s64, v2
	v_mov_b32_e32 v3, 0
	v_mov_b32_e32 v24, 0
	s_and_saveexec_b64 s[16:17], vcc
	s_cbranch_execz .LBB0_877
; %bb.872:                              ;   in Loop: Header=BB0_639 Depth=2
	v_lshrrev_b32_e32 v10, 24, v2
	v_cmp_ne_u32_e32 vcc, s61, v10
	v_bfrev_b32_e32 v24, 1
	s_and_saveexec_b64 s[44:45], vcc
	s_cbranch_execz .LBB0_876
; %bb.873:                              ;   in Loop: Header=BB0_639 Depth=2
	v_bfe_u32 v2, v2, 24, 7
	v_cmp_ne_u32_e32 vcc, s62, v2
	v_mov_b32_e32 v24, 0x7f800001
	s_and_saveexec_b64 s[46:47], vcc
	s_cbranch_execz .LBB0_875
; %bb.874:                              ;   in Loop: Header=BB0_639 Depth=2
	v_and_b32_e32 v24, 7, v10
	v_ffbh_u32_e32 v22, v24
	v_min_u32_e32 v36, 32, v22
	v_subrev_u32_e32 v22, 28, v36
	v_lshlrev_b64 v[22:23], v22, v[10:11]
	v_lshrrev_b32_e32 v31, 3, v2
	v_sub_u32_e32 v23, 29, v36
	v_and_b32_e32 v22, 7, v22
	v_cmp_gt_u32_e32 vcc, 8, v2
	v_cndmask_b32_e32 v2, v31, v23, vcc
	v_cndmask_b32_e32 v22, v24, v22, vcc
	v_lshlrev_b32_e32 v10, 24, v10
	v_lshlrev_b32_e32 v22, 20, v22
	v_and_b32_e32 v10, 0x80000000, v10
	v_lshl_add_u32 v2, v2, 23, v47
	v_or3_b32 v24, v10, v2, v22
.LBB0_875:                              ;   in Loop: Header=BB0_639 Depth=2
	s_or_b64 exec, exec, s[46:47]
.LBB0_876:                              ;   in Loop: Header=BB0_639 Depth=2
	s_or_b64 exec, exec, s[44:45]
.LBB0_877:                              ;   in Loop: Header=BB0_639 Depth=2
	s_or_b64 exec, exec, s[16:17]
	v_lshlrev_b32_e32 v2, 8, v21
	v_and_b32_e32 v2, 0xff00, v2
	v_cmp_ne_u32_e32 vcc, 0, v2
	s_and_saveexec_b64 s[16:17], vcc
	s_cbranch_execz .LBB0_883
; %bb.878:                              ;   in Loop: Header=BB0_639 Depth=2
	v_cmp_ne_u32_e32 vcc, s68, v2
	v_bfrev_b32_e32 v3, 1
	s_and_saveexec_b64 s[44:45], vcc
	s_cbranch_execz .LBB0_882
; %bb.879:                              ;   in Loop: Header=BB0_639 Depth=2
	v_bfe_u32 v10, v2, 8, 7
	v_cmp_ne_u32_e32 vcc, s62, v10
	v_mov_b32_e32 v3, 0x7f800001
	s_and_saveexec_b64 s[46:47], vcc
	s_cbranch_execz .LBB0_881
; %bb.880:                              ;   in Loop: Header=BB0_639 Depth=2
	v_lshrrev_b32_e32 v22, 8, v2
	v_and_b32_e32 v3, 7, v22
	v_ffbh_u32_e32 v23, v3
	v_min_u32_e32 v31, 32, v23
	v_subrev_u32_e32 v23, 28, v31
	v_lshlrev_b64 v[22:23], v23, v[22:23]
	v_lshrrev_b32_e32 v21, 3, v10
	v_sub_u32_e32 v23, 29, v31
	v_and_b32_e32 v22, 7, v22
	v_cmp_gt_u32_e32 vcc, 8, v10
	v_cndmask_b32_e32 v10, v21, v23, vcc
	v_cndmask_b32_e32 v3, v3, v22, vcc
	v_lshlrev_b32_e32 v2, 16, v2
	v_lshlrev_b32_e32 v3, 20, v3
	v_and_b32_e32 v2, 0x80000000, v2
	v_lshl_add_u32 v10, v10, 23, v47
	v_or3_b32 v3, v2, v10, v3
.LBB0_881:                              ;   in Loop: Header=BB0_639 Depth=2
	s_or_b64 exec, exec, s[46:47]
.LBB0_882:                              ;   in Loop: Header=BB0_639 Depth=2
	s_or_b64 exec, exec, s[44:45]
.LBB0_883:                              ;   in Loop: Header=BB0_639 Depth=2
	s_or_b64 exec, exec, s[16:17]
	v_add_f32_e32 v2, v24, v3
	v_and_b32_sdwa v21, v2, s61 dst_sel:DWORD dst_unused:UNUSED_PAD src0_sel:BYTE_3 src1_sel:DWORD
	v_and_b32_e32 v22, 0x7f800000, v2
	v_mov_b32_e32 v23, v43
	v_and_b32_e32 v42, 0x7fffff, v2
	v_or_b32_e32 v10, 0x7e, v21
	v_cmp_ne_u64_e32 vcc, s[36:37], v[22:23]
	s_and_saveexec_b64 s[16:17], vcc
	s_xor_b64 s[44:45], exec, s[16:17]
	s_cbranch_execz .LBB0_893
; %bb.884:                              ;   in Loop: Header=BB0_639 Depth=2
	v_and_b32_e32 v22, 0x7fffffff, v2
	v_mov_b32_e32 v23, v43
	v_cmp_gt_u64_e32 vcc, s[38:39], v[22:23]
	s_and_saveexec_b64 s[46:47], vcc
	s_cbranch_execz .LBB0_892
; %bb.885:                              ;   in Loop: Header=BB0_639 Depth=2
	v_cmp_ne_u32_e32 vcc, 0, v2
	v_mov_b32_e32 v10, 0
	s_and_saveexec_b64 s[48:49], vcc
	s_cbranch_execz .LBB0_891
; %bb.886:                              ;   in Loop: Header=BB0_639 Depth=2
	v_bfe_u32 v2, v2, 23, 8
	v_sub_u32_e32 v10, 0x79, v2
	v_cmp_gt_u32_e32 vcc, s63, v2
	v_cndmask_b32_e32 v10, 0, v10, vcc
	v_cmp_eq_u32_e32 vcc, 0, v2
	v_or_b32_e32 v22, 0x800000, v42
	v_cndmask_b32_e32 v10, v10, v6, vcc
	v_add_u32_e32 v3, 0xffffff81, v2
	v_cndmask_b32_e32 v42, v22, v42, vcc
	v_add_u32_e32 v2, 20, v10
	v_cndmask_b32_e32 v24, v3, v30, vcc
	v_lshlrev_b64 v[2:3], v2, -1
	v_lshrrev_b64 v[60:61], v10, v[42:43]
	v_not_b32_e32 v3, v3
	v_not_b32_e32 v2, v2
	v_add_u32_e32 v22, 19, v10
	v_lshrrev_b32_e32 v31, 23, v60
	v_and_b32_e32 v3, 0, v3
	v_and_b32_e32 v2, v42, v2
	v_lshlrev_b64 v[22:23], v22, 1
	v_add3_u32 v31, v10, v24, v31
	v_bfe_u32 v10, v60, 20, 1
	v_add_u32_e32 v10, -1, v10
	v_cmp_eq_u64_e32 vcc, v[2:3], v[22:23]
	v_cndmask_b32_e32 v2, 0, v10, vcc
	v_add_u32_e32 v2, v2, v60
	v_and_b32_e32 v2, 0xfffff, v2
	v_add_co_u32_e32 v2, vcc, v2, v60
	v_add_u32_e32 v24, 6, v31
	v_addc_co_u32_e32 v3, vcc, 0, v61, vcc
	v_cmp_ne_u32_e32 vcc, 0, v24
                                        ; implicit-def: $vgpr10
	s_and_saveexec_b64 s[16:17], vcc
	s_xor_b64 s[16:17], exec, s[16:17]
; %bb.887:                              ;   in Loop: Header=BB0_639 Depth=2
	v_cmp_lt_u64_e32 vcc, s[40:41], v[2:3]
	v_add_u32_e32 v10, 7, v31
	v_cndmask_b32_e64 v22, 0, 1, vcc
	v_cndmask_b32_e32 v10, v24, v10, vcc
	v_lshrrev_b64 v[2:3], v22, v[2:3]
; %bb.888:                              ;   in Loop: Header=BB0_639 Depth=2
	s_andn2_saveexec_b64 s[16:17], s[16:17]
; %bb.889:                              ;   in Loop: Header=BB0_639 Depth=2
	v_bfe_u32 v10, v2, 23, 1
; %bb.890:                              ;   in Loop: Header=BB0_639 Depth=2
	s_or_b64 exec, exec, s[16:17]
	v_lshrrev_b64 v[2:3], 20, v[2:3]
	v_cmp_gt_i32_e32 vcc, 16, v10
	v_cndmask_b32_e32 v3, 0, v3, vcc
	v_cndmask_b32_e32 v2, 7, v2, vcc
	v_cmp_eq_u64_e64 s[16:17], 0, v[2:3]
	v_min_i32_e32 v3, 15, v10
	v_cmp_eq_u32_e32 vcc, 0, v10
	v_lshlrev_b32_e32 v3, 3, v3
	v_and_or_b32 v2, v2, 7, v3
	s_and_b64 s[16:17], vcc, s[16:17]
	v_cndmask_b32_e64 v2, v2, 0, s[16:17]
	v_or_b32_e32 v10, v2, v21
.LBB0_891:                              ;   in Loop: Header=BB0_639 Depth=2
	s_or_b64 exec, exec, s[48:49]
.LBB0_892:                              ;   in Loop: Header=BB0_639 Depth=2
	s_or_b64 exec, exec, s[46:47]
                                        ; implicit-def: $vgpr2
.LBB0_893:                              ;   in Loop: Header=BB0_639 Depth=2
	s_andn2_saveexec_b64 s[16:17], s[44:45]
; %bb.894:                              ;   in Loop: Header=BB0_639 Depth=2
	v_or_b32_sdwa v2, v2, s62 dst_sel:DWORD dst_unused:UNUSED_PAD src0_sel:BYTE_3 src1_sel:DWORD
	v_cmp_eq_u64_e32 vcc, 0, v[42:43]
	v_cndmask_b32_e32 v10, v2, v10, vcc
; %bb.895:                              ;   in Loop: Header=BB0_639 Depth=2
	s_or_b64 exec, exec, s[16:17]
	v_cmp_ne_u16_sdwa vcc, v4, v43 src0_sel:BYTE_0 src1_sel:DWORD
	v_mov_b32_e32 v2, 0
	v_mov_b32_e32 v3, 0
	s_and_saveexec_b64 s[16:17], vcc
	s_cbranch_execz .LBB0_901
; %bb.896:                              ;   in Loop: Header=BB0_639 Depth=2
	v_cmp_ne_u16_sdwa vcc, v4, s61 src0_sel:BYTE_0 src1_sel:DWORD
	v_bfrev_b32_e32 v3, 1
	s_and_saveexec_b64 s[44:45], vcc
	s_cbranch_execz .LBB0_900
; %bb.897:                              ;   in Loop: Header=BB0_639 Depth=2
	v_and_b32_e32 v21, 0x7f, v4
	v_cmp_ne_u32_e32 vcc, s62, v21
	v_mov_b32_e32 v3, 0x7f800001
	s_and_saveexec_b64 s[46:47], vcc
	s_cbranch_execz .LBB0_899
; %bb.898:                              ;   in Loop: Header=BB0_639 Depth=2
	v_and_b32_e32 v3, 7, v4
	v_ffbh_u32_e32 v3, v3
	v_min_u32_e32 v3, 32, v3
	v_subrev_u32_e32 v23, 28, v3
	v_cmp_gt_u32_e32 vcc, 8, v21
	v_lshrrev_b32_e32 v22, 3, v21
	v_sub_u32_e32 v3, 29, v3
	v_cndmask_b32_e32 v21, 0, v23, vcc
	v_cndmask_b32_e32 v3, v22, v3, vcc
	v_lshlrev_b64 v[22:23], v21, v[4:5]
	v_lshlrev_b32_e32 v5, 20, v22
	v_lshlrev_b32_e32 v21, 24, v4
	v_and_b32_e32 v5, 0x700000, v5
	v_and_b32_e32 v21, 0x80000000, v21
	v_lshl_add_u32 v3, v3, 23, v47
	v_or3_b32 v3, v21, v3, v5
.LBB0_899:                              ;   in Loop: Header=BB0_639 Depth=2
	s_or_b64 exec, exec, s[46:47]
.LBB0_900:                              ;   in Loop: Header=BB0_639 Depth=2
	s_or_b64 exec, exec, s[44:45]
.LBB0_901:                              ;   in Loop: Header=BB0_639 Depth=2
	s_or_b64 exec, exec, s[16:17]
	v_lshlrev_b32_e32 v21, 8, v27
	v_lshlrev_b32_e32 v5, 24, v48
	v_perm_b32 v22, v33, v9, s69
	v_or3_b32 v42, v22, v5, v21
	v_cmp_ne_u16_sdwa vcc, v9, v43 src0_sel:BYTE_0 src1_sel:DWORD
	s_and_saveexec_b64 s[16:17], vcc
	s_cbranch_execz .LBB0_907
; %bb.902:                              ;   in Loop: Header=BB0_639 Depth=2
	v_cmp_ne_u16_sdwa vcc, v9, s61 src0_sel:BYTE_0 src1_sel:DWORD
	v_bfrev_b32_e32 v2, 1
	s_and_saveexec_b64 s[44:45], vcc
	s_cbranch_execz .LBB0_906
; %bb.903:                              ;   in Loop: Header=BB0_639 Depth=2
	v_and_b32_e32 v5, 0x7f, v9
	v_cmp_ne_u32_e32 vcc, s62, v5
	v_mov_b32_e32 v2, 0x7f800001
	s_and_saveexec_b64 s[46:47], vcc
	s_cbranch_execz .LBB0_905
; %bb.904:                              ;   in Loop: Header=BB0_639 Depth=2
	v_and_b32_e32 v2, 7, v9
	v_ffbh_u32_e32 v2, v2
	v_min_u32_e32 v2, 32, v2
	v_subrev_u32_e32 v22, 28, v2
	v_cmp_gt_u32_e32 vcc, 8, v5
	v_lshrrev_b32_e32 v9, 3, v5
	v_cndmask_b32_e32 v5, 0, v22, vcc
	v_sub_u32_e32 v2, 29, v2
	v_lshlrev_b64 v[22:23], v5, v[42:43]
	v_cndmask_b32_e32 v2, v9, v2, vcc
	v_lshlrev_b32_e32 v5, 20, v22
	v_lshlrev_b32_e32 v9, 24, v42
	v_and_b32_e32 v5, 0x700000, v5
	v_and_b32_e32 v9, 0x80000000, v9
	v_lshl_add_u32 v2, v2, 23, v47
	v_or3_b32 v2, v9, v2, v5
.LBB0_905:                              ;   in Loop: Header=BB0_639 Depth=2
	s_or_b64 exec, exec, s[46:47]
.LBB0_906:                              ;   in Loop: Header=BB0_639 Depth=2
	s_or_b64 exec, exec, s[44:45]
.LBB0_907:                              ;   in Loop: Header=BB0_639 Depth=2
	s_or_b64 exec, exec, s[16:17]
	v_add_f32_e32 v24, v3, v2
	v_and_b32_sdwa v9, v24, s61 dst_sel:DWORD dst_unused:UNUSED_PAD src0_sel:BYTE_3 src1_sel:DWORD
	v_and_b32_e32 v22, 0x7f800000, v24
	v_mov_b32_e32 v23, v43
	v_and_b32_e32 v2, 0x7fffff, v24
	v_mov_b32_e32 v3, v43
	v_or_b32_e32 v5, 0x7e, v9
	v_cmp_ne_u64_e32 vcc, s[36:37], v[22:23]
	s_and_saveexec_b64 s[16:17], vcc
	s_xor_b64 s[44:45], exec, s[16:17]
	s_cbranch_execz .LBB0_917
; %bb.908:                              ;   in Loop: Header=BB0_639 Depth=2
	v_and_b32_e32 v22, 0x7fffffff, v24
	v_mov_b32_e32 v23, v43
	v_cmp_gt_u64_e32 vcc, s[38:39], v[22:23]
	s_and_saveexec_b64 s[46:47], vcc
	s_cbranch_execz .LBB0_916
; %bb.909:                              ;   in Loop: Header=BB0_639 Depth=2
	v_cmp_ne_u32_e32 vcc, 0, v24
	v_mov_b32_e32 v5, 0
	s_and_saveexec_b64 s[48:49], vcc
	s_cbranch_execz .LBB0_915
; %bb.910:                              ;   in Loop: Header=BB0_639 Depth=2
	v_bfe_u32 v5, v24, 23, 8
	v_sub_u32_e32 v23, 0x79, v5
	v_cmp_gt_u32_e32 vcc, s63, v5
	v_cndmask_b32_e32 v23, 0, v23, vcc
	v_cmp_eq_u32_e32 vcc, 0, v5
	v_add_u32_e32 v22, 0xffffff81, v5
	v_cndmask_b32_e32 v27, v23, v6, vcc
	v_cndmask_b32_e32 v5, v22, v30, vcc
	v_add_u32_e32 v22, 20, v27
	v_or_b32_e32 v24, 0x800000, v2
	v_lshlrev_b64 v[22:23], v22, -1
	v_cndmask_b32_e32 v2, v24, v2, vcc
	v_not_b32_e32 v22, v22
	v_and_b32_e32 v22, v2, v22
	v_add_u32_e32 v24, 19, v27
	v_lshrrev_b64 v[2:3], v27, v[2:3]
	v_not_b32_e32 v23, v23
	v_lshlrev_b64 v[48:49], v24, 1
	v_lshrrev_b32_e32 v24, 23, v2
	v_and_b32_e32 v23, 0, v23
	v_add3_u32 v27, v27, v5, v24
	v_bfe_u32 v5, v2, 20, 1
	v_add_u32_e32 v5, -1, v5
	v_cmp_eq_u64_e32 vcc, v[22:23], v[48:49]
	v_cndmask_b32_e32 v5, 0, v5, vcc
	v_add_u32_e32 v5, v5, v2
	v_and_b32_e32 v5, 0xfffff, v5
	v_add_co_u32_e32 v2, vcc, v5, v2
	v_add_u32_e32 v24, 6, v27
	v_addc_co_u32_e32 v3, vcc, 0, v3, vcc
	v_cmp_ne_u32_e32 vcc, 0, v24
                                        ; implicit-def: $vgpr5
	s_and_saveexec_b64 s[16:17], vcc
	s_xor_b64 s[16:17], exec, s[16:17]
; %bb.911:                              ;   in Loop: Header=BB0_639 Depth=2
	v_cmp_lt_u64_e32 vcc, s[40:41], v[2:3]
	v_add_u32_e32 v5, 7, v27
	v_cndmask_b32_e64 v22, 0, 1, vcc
	v_cndmask_b32_e32 v5, v24, v5, vcc
	v_lshrrev_b64 v[2:3], v22, v[2:3]
; %bb.912:                              ;   in Loop: Header=BB0_639 Depth=2
	s_andn2_saveexec_b64 s[16:17], s[16:17]
; %bb.913:                              ;   in Loop: Header=BB0_639 Depth=2
	v_bfe_u32 v5, v2, 23, 1
; %bb.914:                              ;   in Loop: Header=BB0_639 Depth=2
	s_or_b64 exec, exec, s[16:17]
	v_lshrrev_b64 v[2:3], 20, v[2:3]
	v_cmp_gt_i32_e32 vcc, 16, v5
	v_cndmask_b32_e32 v3, 0, v3, vcc
	v_cndmask_b32_e32 v2, 7, v2, vcc
	v_cmp_eq_u64_e64 s[16:17], 0, v[2:3]
	v_min_i32_e32 v3, 15, v5
	v_cmp_eq_u32_e32 vcc, 0, v5
	v_lshlrev_b32_e32 v3, 3, v3
	v_and_or_b32 v2, v2, 7, v3
	s_and_b64 s[16:17], vcc, s[16:17]
	v_cndmask_b32_e64 v2, v2, 0, s[16:17]
	v_or_b32_e32 v5, v2, v9
.LBB0_915:                              ;   in Loop: Header=BB0_639 Depth=2
	s_or_b64 exec, exec, s[48:49]
.LBB0_916:                              ;   in Loop: Header=BB0_639 Depth=2
	s_or_b64 exec, exec, s[46:47]
                                        ; implicit-def: $vgpr24
                                        ; implicit-def: $vgpr2_vgpr3
.LBB0_917:                              ;   in Loop: Header=BB0_639 Depth=2
	s_andn2_saveexec_b64 s[16:17], s[44:45]
; %bb.918:                              ;   in Loop: Header=BB0_639 Depth=2
	v_or_b32_sdwa v9, v24, s62 dst_sel:DWORD dst_unused:UNUSED_PAD src0_sel:BYTE_3 src1_sel:DWORD
	v_cmp_eq_u64_e32 vcc, 0, v[2:3]
	v_cndmask_b32_e32 v5, v9, v5, vcc
; %bb.919:                              ;   in Loop: Header=BB0_639 Depth=2
	s_or_b64 exec, exec, s[16:17]
	v_lshrrev_b16_e32 v2, 8, v4
	v_cmp_ne_u16_e32 vcc, 0, v2
	v_mov_b32_e32 v3, 0
	v_mov_b32_e32 v9, 0
	s_and_saveexec_b64 s[16:17], vcc
	s_cbranch_execz .LBB0_925
; %bb.920:                              ;   in Loop: Header=BB0_639 Depth=2
	v_cmp_ne_u16_e32 vcc, s61, v2
	v_bfrev_b32_e32 v9, 1
	s_and_saveexec_b64 s[44:45], vcc
	s_cbranch_execz .LBB0_924
; %bb.921:                              ;   in Loop: Header=BB0_639 Depth=2
	v_and_b32_e32 v22, 0x7f, v2
	v_cmp_ne_u32_e32 vcc, s62, v22
	v_mov_b32_e32 v9, 0x7f800001
	s_and_saveexec_b64 s[46:47], vcc
	s_cbranch_execz .LBB0_923
; %bb.922:                              ;   in Loop: Header=BB0_639 Depth=2
	v_and_b32_e32 v9, 7, v2
	v_ffbh_u32_e32 v24, v9
	v_min_u32_e32 v24, 32, v24
	v_subrev_u32_e32 v27, 28, v24
	v_lshlrev_b64 v[48:49], v27, v[2:3]
	v_lshrrev_b32_e32 v23, 3, v22
	v_sub_u32_e32 v2, 29, v24
	v_and_b32_e32 v24, 7, v48
	v_cmp_gt_u32_e32 vcc, 8, v22
	v_cndmask_b32_e32 v2, v23, v2, vcc
	v_cndmask_b32_e32 v9, v9, v24, vcc
	v_lshlrev_b32_e32 v22, 16, v4
	v_lshlrev_b32_e32 v9, 20, v9
	v_and_b32_e32 v22, 0x80000000, v22
	v_lshl_add_u32 v2, v2, 23, v47
	v_or3_b32 v9, v22, v2, v9
.LBB0_923:                              ;   in Loop: Header=BB0_639 Depth=2
	s_or_b64 exec, exec, s[46:47]
.LBB0_924:                              ;   in Loop: Header=BB0_639 Depth=2
	s_or_b64 exec, exec, s[44:45]
.LBB0_925:                              ;   in Loop: Header=BB0_639 Depth=2
	s_or_b64 exec, exec, s[16:17]
	v_lshrrev_b16_e32 v2, 8, v21
	v_cmp_ne_u16_e32 vcc, 0, v2
	s_and_saveexec_b64 s[16:17], vcc
	s_cbranch_execz .LBB0_931
; %bb.926:                              ;   in Loop: Header=BB0_639 Depth=2
	v_cmp_ne_u16_e32 vcc, s61, v2
	v_bfrev_b32_e32 v3, 1
	s_and_saveexec_b64 s[44:45], vcc
	s_cbranch_execz .LBB0_930
; %bb.927:                              ;   in Loop: Header=BB0_639 Depth=2
	v_and_b32_e32 v22, 0x7f, v2
	v_cmp_ne_u32_e32 vcc, s62, v22
	v_mov_b32_e32 v3, 0x7f800001
	s_and_saveexec_b64 s[46:47], vcc
	s_cbranch_execz .LBB0_929
; %bb.928:                              ;   in Loop: Header=BB0_639 Depth=2
	v_and_b32_e32 v23, 7, v2
	v_ffbh_u32_e32 v3, v23
	v_min_u32_e32 v27, 32, v3
	v_subrev_u32_e32 v3, 28, v27
	v_lshlrev_b64 v[2:3], v3, v[2:3]
	v_lshrrev_b32_e32 v24, 3, v22
	v_sub_u32_e32 v3, 29, v27
	v_and_b32_e32 v2, 7, v2
	v_cmp_gt_u32_e32 vcc, 8, v22
	v_cndmask_b32_e32 v3, v24, v3, vcc
	v_cndmask_b32_e32 v2, v23, v2, vcc
	v_lshlrev_b32_e32 v21, 16, v21
	v_lshlrev_b32_e32 v2, 20, v2
	v_and_b32_e32 v21, 0x80000000, v21
	v_lshl_add_u32 v3, v3, 23, v47
	v_or3_b32 v3, v21, v3, v2
.LBB0_929:                              ;   in Loop: Header=BB0_639 Depth=2
	s_or_b64 exec, exec, s[46:47]
.LBB0_930:                              ;   in Loop: Header=BB0_639 Depth=2
	s_or_b64 exec, exec, s[44:45]
.LBB0_931:                              ;   in Loop: Header=BB0_639 Depth=2
	s_or_b64 exec, exec, s[16:17]
	v_add_f32_e32 v24, v9, v3
	v_and_b32_sdwa v21, v24, s61 dst_sel:DWORD dst_unused:UNUSED_PAD src0_sel:BYTE_3 src1_sel:DWORD
	v_and_b32_e32 v22, 0x7f800000, v24
	v_mov_b32_e32 v23, v43
	v_and_b32_e32 v2, 0x7fffff, v24
	v_mov_b32_e32 v3, v43
	v_or_b32_e32 v9, 0x7e, v21
	v_cmp_ne_u64_e32 vcc, s[36:37], v[22:23]
	s_and_saveexec_b64 s[16:17], vcc
	s_xor_b64 s[44:45], exec, s[16:17]
	s_cbranch_execz .LBB0_941
; %bb.932:                              ;   in Loop: Header=BB0_639 Depth=2
	v_and_b32_e32 v22, 0x7fffffff, v24
	v_mov_b32_e32 v23, v43
	v_cmp_gt_u64_e32 vcc, s[38:39], v[22:23]
	s_and_saveexec_b64 s[46:47], vcc
	s_cbranch_execz .LBB0_940
; %bb.933:                              ;   in Loop: Header=BB0_639 Depth=2
	v_cmp_ne_u32_e32 vcc, 0, v24
	v_mov_b32_e32 v9, 0
	s_and_saveexec_b64 s[48:49], vcc
	s_cbranch_execz .LBB0_939
; %bb.934:                              ;   in Loop: Header=BB0_639 Depth=2
	v_bfe_u32 v9, v24, 23, 8
	v_sub_u32_e32 v23, 0x79, v9
	v_cmp_gt_u32_e32 vcc, s63, v9
	v_cndmask_b32_e32 v23, 0, v23, vcc
	v_cmp_eq_u32_e32 vcc, 0, v9
	v_add_u32_e32 v22, 0xffffff81, v9
	v_cndmask_b32_e32 v27, v23, v6, vcc
	v_cndmask_b32_e32 v9, v22, v30, vcc
	v_add_u32_e32 v22, 20, v27
	v_or_b32_e32 v24, 0x800000, v2
	v_lshlrev_b64 v[22:23], v22, -1
	v_cndmask_b32_e32 v2, v24, v2, vcc
	v_not_b32_e32 v22, v22
	v_and_b32_e32 v22, v2, v22
	v_add_u32_e32 v24, 19, v27
	v_lshrrev_b64 v[2:3], v27, v[2:3]
	v_not_b32_e32 v23, v23
	v_lshlrev_b64 v[48:49], v24, 1
	v_lshrrev_b32_e32 v24, 23, v2
	v_and_b32_e32 v23, 0, v23
	v_add3_u32 v27, v27, v9, v24
	v_bfe_u32 v9, v2, 20, 1
	v_add_u32_e32 v9, -1, v9
	v_cmp_eq_u64_e32 vcc, v[22:23], v[48:49]
	v_cndmask_b32_e32 v9, 0, v9, vcc
	v_add_u32_e32 v9, v9, v2
	v_and_b32_e32 v9, 0xfffff, v9
	v_add_co_u32_e32 v2, vcc, v9, v2
	v_add_u32_e32 v24, 6, v27
	v_addc_co_u32_e32 v3, vcc, 0, v3, vcc
	v_cmp_ne_u32_e32 vcc, 0, v24
                                        ; implicit-def: $vgpr9
	s_and_saveexec_b64 s[16:17], vcc
	s_xor_b64 s[16:17], exec, s[16:17]
; %bb.935:                              ;   in Loop: Header=BB0_639 Depth=2
	v_cmp_lt_u64_e32 vcc, s[40:41], v[2:3]
	v_add_u32_e32 v9, 7, v27
	v_cndmask_b32_e64 v22, 0, 1, vcc
	v_cndmask_b32_e32 v9, v24, v9, vcc
	v_lshrrev_b64 v[2:3], v22, v[2:3]
; %bb.936:                              ;   in Loop: Header=BB0_639 Depth=2
	s_andn2_saveexec_b64 s[16:17], s[16:17]
; %bb.937:                              ;   in Loop: Header=BB0_639 Depth=2
	v_bfe_u32 v9, v2, 23, 1
; %bb.938:                              ;   in Loop: Header=BB0_639 Depth=2
	s_or_b64 exec, exec, s[16:17]
	v_lshrrev_b64 v[2:3], 20, v[2:3]
	v_cmp_gt_i32_e32 vcc, 16, v9
	v_cndmask_b32_e32 v3, 0, v3, vcc
	v_cndmask_b32_e32 v2, 7, v2, vcc
	v_cmp_eq_u64_e64 s[16:17], 0, v[2:3]
	v_min_i32_e32 v3, 15, v9
	v_cmp_eq_u32_e32 vcc, 0, v9
	v_lshlrev_b32_e32 v3, 3, v3
	v_and_or_b32 v2, v2, 7, v3
	s_and_b64 s[16:17], vcc, s[16:17]
	v_cndmask_b32_e64 v2, v2, 0, s[16:17]
	v_or_b32_e32 v9, v2, v21
.LBB0_939:                              ;   in Loop: Header=BB0_639 Depth=2
	s_or_b64 exec, exec, s[48:49]
.LBB0_940:                              ;   in Loop: Header=BB0_639 Depth=2
	s_or_b64 exec, exec, s[46:47]
                                        ; implicit-def: $vgpr24
                                        ; implicit-def: $vgpr2_vgpr3
.LBB0_941:                              ;   in Loop: Header=BB0_639 Depth=2
	s_andn2_saveexec_b64 s[16:17], s[44:45]
; %bb.942:                              ;   in Loop: Header=BB0_639 Depth=2
	v_or_b32_sdwa v21, v24, s62 dst_sel:DWORD dst_unused:UNUSED_PAD src0_sel:BYTE_3 src1_sel:DWORD
	v_cmp_eq_u64_e32 vcc, 0, v[2:3]
	v_cndmask_b32_e32 v9, v21, v9, vcc
; %bb.943:                              ;   in Loop: Header=BB0_639 Depth=2
	s_or_b64 exec, exec, s[16:17]
	v_lshrrev_b32_e32 v2, 16, v4
	v_cmp_ne_u16_sdwa vcc, v2, v43 src0_sel:BYTE_0 src1_sel:DWORD
	v_mov_b32_e32 v3, 0
	v_mov_b32_e32 v21, 0
	s_and_saveexec_b64 s[16:17], vcc
	s_cbranch_execz .LBB0_949
; %bb.944:                              ;   in Loop: Header=BB0_639 Depth=2
	v_cmp_ne_u16_sdwa vcc, v2, s61 src0_sel:BYTE_0 src1_sel:DWORD
	v_bfrev_b32_e32 v21, 1
	s_and_saveexec_b64 s[44:45], vcc
	s_cbranch_execz .LBB0_948
; %bb.945:                              ;   in Loop: Header=BB0_639 Depth=2
	v_bfe_u32 v22, v4, 16, 7
	v_cmp_ne_u32_e32 vcc, s62, v22
	v_mov_b32_e32 v21, 0x7f800001
	s_and_saveexec_b64 s[46:47], vcc
	s_cbranch_execz .LBB0_947
; %bb.946:                              ;   in Loop: Header=BB0_639 Depth=2
	v_and_b32_e32 v21, 7, v2
	v_ffbh_u32_e32 v24, v21
	v_min_u32_e32 v24, 32, v24
	v_subrev_u32_e32 v27, 28, v24
	v_lshlrev_b64 v[48:49], v27, v[2:3]
	v_lshrrev_b32_e32 v23, 3, v22
	v_sub_u32_e32 v24, 29, v24
	v_and_b32_e32 v27, 7, v48
	v_cmp_gt_u32_e32 vcc, 8, v22
	v_cndmask_b32_e32 v22, v23, v24, vcc
	v_cndmask_b32_e32 v21, v21, v27, vcc
	v_lshlrev_b32_e32 v2, 24, v2
	v_lshlrev_b32_e32 v21, 20, v21
	v_and_b32_e32 v2, 0x80000000, v2
	v_lshl_add_u32 v22, v22, 23, v47
	v_or3_b32 v21, v2, v22, v21
.LBB0_947:                              ;   in Loop: Header=BB0_639 Depth=2
	s_or_b64 exec, exec, s[46:47]
.LBB0_948:                              ;   in Loop: Header=BB0_639 Depth=2
	s_or_b64 exec, exec, s[44:45]
.LBB0_949:                              ;   in Loop: Header=BB0_639 Depth=2
	s_or_b64 exec, exec, s[16:17]
	v_lshrrev_b32_e32 v2, 16, v42
	v_cmp_ne_u16_sdwa vcc, v2, v43 src0_sel:BYTE_0 src1_sel:DWORD
	s_and_saveexec_b64 s[16:17], vcc
	s_cbranch_execz .LBB0_955
; %bb.950:                              ;   in Loop: Header=BB0_639 Depth=2
	v_cmp_ne_u16_sdwa vcc, v2, s61 src0_sel:BYTE_0 src1_sel:DWORD
	v_bfrev_b32_e32 v3, 1
	s_and_saveexec_b64 s[44:45], vcc
	s_cbranch_execz .LBB0_954
; %bb.951:                              ;   in Loop: Header=BB0_639 Depth=2
	v_bfe_u32 v22, v42, 16, 7
	v_cmp_ne_u32_e32 vcc, s62, v22
	v_mov_b32_e32 v3, 0x7f800001
	s_and_saveexec_b64 s[46:47], vcc
	s_cbranch_execz .LBB0_953
; %bb.952:                              ;   in Loop: Header=BB0_639 Depth=2
	v_and_b32_e32 v23, 7, v2
	v_ffbh_u32_e32 v3, v23
	v_min_u32_e32 v27, 32, v3
	v_subrev_u32_e32 v3, 28, v27
	v_lshlrev_b64 v[2:3], v3, v[2:3]
	v_lshrrev_b32_e32 v24, 3, v22
	v_sub_u32_e32 v3, 29, v27
	v_and_b32_e32 v2, 7, v2
	v_cmp_gt_u32_e32 vcc, 8, v22
	v_cndmask_b32_e32 v3, v24, v3, vcc
	v_cndmask_b32_e32 v2, v23, v2, vcc
	v_lshlrev_b32_e32 v22, 8, v42
	v_lshlrev_b32_e32 v2, 20, v2
	v_and_b32_e32 v22, 0x80000000, v22
	v_lshl_add_u32 v3, v3, 23, v47
	v_or3_b32 v3, v22, v3, v2
.LBB0_953:                              ;   in Loop: Header=BB0_639 Depth=2
	s_or_b64 exec, exec, s[46:47]
.LBB0_954:                              ;   in Loop: Header=BB0_639 Depth=2
	s_or_b64 exec, exec, s[44:45]
.LBB0_955:                              ;   in Loop: Header=BB0_639 Depth=2
	s_or_b64 exec, exec, s[16:17]
	v_add_f32_e32 v27, v21, v3
	v_and_b32_sdwa v24, v27, s61 dst_sel:DWORD dst_unused:UNUSED_PAD src0_sel:BYTE_3 src1_sel:DWORD
	v_and_b32_e32 v22, 0x7f800000, v27
	v_mov_b32_e32 v23, v43
	v_and_b32_e32 v2, 0x7fffff, v27
	v_mov_b32_e32 v3, v43
	v_or_b32_e32 v21, 0x7e, v24
	v_cmp_ne_u64_e32 vcc, s[36:37], v[22:23]
	s_and_saveexec_b64 s[16:17], vcc
	s_xor_b64 s[44:45], exec, s[16:17]
	s_cbranch_execz .LBB0_965
; %bb.956:                              ;   in Loop: Header=BB0_639 Depth=2
	v_and_b32_e32 v22, 0x7fffffff, v27
	v_mov_b32_e32 v23, v43
	v_cmp_gt_u64_e32 vcc, s[38:39], v[22:23]
	s_and_saveexec_b64 s[46:47], vcc
	s_cbranch_execz .LBB0_964
; %bb.957:                              ;   in Loop: Header=BB0_639 Depth=2
	v_cmp_ne_u32_e32 vcc, 0, v27
	v_mov_b32_e32 v21, 0
	s_and_saveexec_b64 s[48:49], vcc
	s_cbranch_execz .LBB0_963
; %bb.958:                              ;   in Loop: Header=BB0_639 Depth=2
	v_bfe_u32 v21, v27, 23, 8
	v_sub_u32_e32 v23, 0x79, v21
	v_cmp_gt_u32_e32 vcc, s63, v21
	v_cndmask_b32_e32 v23, 0, v23, vcc
	v_cmp_eq_u32_e32 vcc, 0, v21
	v_add_u32_e32 v22, 0xffffff81, v21
	v_cndmask_b32_e32 v31, v23, v6, vcc
	v_cndmask_b32_e32 v21, v22, v30, vcc
	v_add_u32_e32 v22, 20, v31
	v_or_b32_e32 v27, 0x800000, v2
	v_lshlrev_b64 v[22:23], v22, -1
	v_cndmask_b32_e32 v2, v27, v2, vcc
	v_not_b32_e32 v22, v22
	v_and_b32_e32 v22, v2, v22
	v_add_u32_e32 v27, 19, v31
	v_lshrrev_b64 v[2:3], v31, v[2:3]
	v_not_b32_e32 v23, v23
	v_lshlrev_b64 v[48:49], v27, 1
	v_lshrrev_b32_e32 v27, 23, v2
	v_and_b32_e32 v23, 0, v23
	v_add3_u32 v31, v31, v21, v27
	v_bfe_u32 v21, v2, 20, 1
	v_add_u32_e32 v21, -1, v21
	v_cmp_eq_u64_e32 vcc, v[22:23], v[48:49]
	v_cndmask_b32_e32 v21, 0, v21, vcc
	v_add_u32_e32 v21, v21, v2
	v_and_b32_e32 v21, 0xfffff, v21
	v_add_co_u32_e32 v2, vcc, v21, v2
	v_add_u32_e32 v27, 6, v31
	v_addc_co_u32_e32 v3, vcc, 0, v3, vcc
	v_cmp_ne_u32_e32 vcc, 0, v27
                                        ; implicit-def: $vgpr21
	s_and_saveexec_b64 s[16:17], vcc
	s_xor_b64 s[16:17], exec, s[16:17]
; %bb.959:                              ;   in Loop: Header=BB0_639 Depth=2
	v_cmp_lt_u64_e32 vcc, s[40:41], v[2:3]
	v_add_u32_e32 v21, 7, v31
	v_cndmask_b32_e64 v22, 0, 1, vcc
	v_cndmask_b32_e32 v21, v27, v21, vcc
	v_lshrrev_b64 v[2:3], v22, v[2:3]
; %bb.960:                              ;   in Loop: Header=BB0_639 Depth=2
	s_andn2_saveexec_b64 s[16:17], s[16:17]
; %bb.961:                              ;   in Loop: Header=BB0_639 Depth=2
	v_bfe_u32 v21, v2, 23, 1
; %bb.962:                              ;   in Loop: Header=BB0_639 Depth=2
	s_or_b64 exec, exec, s[16:17]
	v_lshrrev_b64 v[2:3], 20, v[2:3]
	v_cmp_gt_i32_e32 vcc, 16, v21
	v_cndmask_b32_e32 v3, 0, v3, vcc
	v_cndmask_b32_e32 v2, 7, v2, vcc
	v_cmp_eq_u64_e64 s[16:17], 0, v[2:3]
	v_min_i32_e32 v3, 15, v21
	v_lshlrev_b32_e32 v3, 3, v3
	v_cmp_eq_u32_e32 vcc, 0, v21
	v_and_b32_e32 v3, 0xf8, v3
	v_and_or_b32 v2, v2, 7, v3
	s_and_b64 s[16:17], vcc, s[16:17]
	v_cndmask_b32_e64 v2, v2, 0, s[16:17]
	v_or_b32_e32 v21, v2, v24
.LBB0_963:                              ;   in Loop: Header=BB0_639 Depth=2
	s_or_b64 exec, exec, s[48:49]
.LBB0_964:                              ;   in Loop: Header=BB0_639 Depth=2
	s_or_b64 exec, exec, s[46:47]
                                        ; implicit-def: $vgpr27
                                        ; implicit-def: $vgpr2_vgpr3
.LBB0_965:                              ;   in Loop: Header=BB0_639 Depth=2
	s_andn2_saveexec_b64 s[16:17], s[44:45]
; %bb.966:                              ;   in Loop: Header=BB0_639 Depth=2
	v_or_b32_sdwa v22, v27, s62 dst_sel:DWORD dst_unused:UNUSED_PAD src0_sel:BYTE_3 src1_sel:DWORD
	v_cmp_eq_u64_e32 vcc, 0, v[2:3]
	v_cndmask_b32_e32 v21, v22, v21, vcc
; %bb.967:                              ;   in Loop: Header=BB0_639 Depth=2
	s_or_b64 exec, exec, s[16:17]
	v_and_b32_e32 v2, 0xff000000, v4
	v_mov_b32_e32 v3, v43
	v_cmp_ne_u64_e32 vcc, 0, v[2:3]
	v_mov_b32_e32 v3, 0
	v_mov_b32_e32 v24, 0
	s_and_saveexec_b64 s[16:17], vcc
	s_cbranch_execz .LBB0_973
; %bb.968:                              ;   in Loop: Header=BB0_639 Depth=2
	v_lshrrev_b32_e32 v2, 24, v4
	v_cmp_ne_u32_e32 vcc, s61, v2
	v_bfrev_b32_e32 v24, 1
	s_and_saveexec_b64 s[44:45], vcc
	s_cbranch_execz .LBB0_972
; %bb.969:                              ;   in Loop: Header=BB0_639 Depth=2
	v_bfe_u32 v4, v4, 24, 7
	v_cmp_ne_u32_e32 vcc, s62, v4
	v_mov_b32_e32 v24, 0x7f800001
	s_and_saveexec_b64 s[46:47], vcc
	s_cbranch_execz .LBB0_971
; %bb.970:                              ;   in Loop: Header=BB0_639 Depth=2
	v_and_b32_e32 v24, 7, v2
	v_ffbh_u32_e32 v22, v24
	v_min_u32_e32 v31, 32, v22
	v_subrev_u32_e32 v22, 28, v31
	v_lshlrev_b64 v[22:23], v22, v[2:3]
	v_lshrrev_b32_e32 v27, 3, v4
	v_sub_u32_e32 v23, 29, v31
	v_and_b32_e32 v22, 7, v22
	v_cmp_gt_u32_e32 vcc, 8, v4
	v_cndmask_b32_e32 v4, v27, v23, vcc
	v_cndmask_b32_e32 v22, v24, v22, vcc
	v_lshlrev_b32_e32 v2, 24, v2
	v_lshlrev_b32_e32 v22, 20, v22
	v_and_b32_e32 v2, 0x80000000, v2
	v_lshl_add_u32 v4, v4, 23, v47
	v_or3_b32 v24, v2, v4, v22
.LBB0_971:                              ;   in Loop: Header=BB0_639 Depth=2
	s_or_b64 exec, exec, s[46:47]
.LBB0_972:                              ;   in Loop: Header=BB0_639 Depth=2
	s_or_b64 exec, exec, s[44:45]
.LBB0_973:                              ;   in Loop: Header=BB0_639 Depth=2
	s_or_b64 exec, exec, s[16:17]
	v_cmp_lt_u32_e32 vcc, s64, v42
	s_and_saveexec_b64 s[16:17], vcc
	s_cbranch_execz .LBB0_979
; %bb.974:                              ;   in Loop: Header=BB0_639 Depth=2
	v_lshrrev_b32_e32 v2, 24, v42
	v_cmp_ne_u32_sdwa vcc, v42, s61 src0_sel:BYTE_3 src1_sel:DWORD
	v_bfrev_b32_e32 v3, 1
	s_and_saveexec_b64 s[44:45], vcc
	s_cbranch_execz .LBB0_978
; %bb.975:                              ;   in Loop: Header=BB0_639 Depth=2
	v_bfe_u32 v4, v42, 24, 7
	v_cmp_ne_u32_e32 vcc, s62, v4
	v_mov_b32_e32 v3, 0x7f800001
	s_and_saveexec_b64 s[46:47], vcc
	s_cbranch_execz .LBB0_977
; %bb.976:                              ;   in Loop: Header=BB0_639 Depth=2
	v_and_b32_e32 v22, 7, v2
	v_ffbh_u32_e32 v3, v22
	v_min_u32_e32 v27, 32, v3
	v_subrev_u32_e32 v3, 28, v27
	v_lshlrev_b64 v[2:3], v3, v[2:3]
	v_lshrrev_b32_e32 v23, 3, v4
	v_sub_u32_e32 v3, 29, v27
	v_and_b32_e32 v2, 7, v2
	v_cmp_gt_u32_e32 vcc, 8, v4
	v_cndmask_b32_e32 v3, v23, v3, vcc
	v_cndmask_b32_e32 v2, v22, v2, vcc
	v_lshlrev_b32_sdwa v4, v7, v42 dst_sel:DWORD dst_unused:UNUSED_PAD src0_sel:DWORD src1_sel:BYTE_3
	v_lshlrev_b32_e32 v2, 20, v2
	v_and_b32_e32 v4, 0x80000000, v4
	v_lshl_add_u32 v3, v3, 23, v47
	v_or3_b32 v3, v4, v3, v2
.LBB0_977:                              ;   in Loop: Header=BB0_639 Depth=2
	s_or_b64 exec, exec, s[46:47]
.LBB0_978:                              ;   in Loop: Header=BB0_639 Depth=2
	s_or_b64 exec, exec, s[44:45]
.LBB0_979:                              ;   in Loop: Header=BB0_639 Depth=2
	s_or_b64 exec, exec, s[16:17]
	v_add_f32_e32 v3, v24, v3
	v_and_b32_sdwa v4, v3, s61 dst_sel:DWORD dst_unused:UNUSED_PAD src0_sel:BYTE_3 src1_sel:DWORD
	v_and_b32_e32 v22, 0x7f800000, v3
	v_mov_b32_e32 v23, v43
	v_and_b32_e32 v42, 0x7fffff, v3
	v_or_b32_e32 v2, 0x7e, v4
	v_cmp_ne_u64_e32 vcc, s[36:37], v[22:23]
	s_and_saveexec_b64 s[16:17], vcc
	s_xor_b64 s[44:45], exec, s[16:17]
	s_cbranch_execz .LBB0_989
; %bb.980:                              ;   in Loop: Header=BB0_639 Depth=2
	v_and_b32_e32 v22, 0x7fffffff, v3
	v_mov_b32_e32 v23, v43
	v_cmp_gt_u64_e32 vcc, s[38:39], v[22:23]
	s_and_saveexec_b64 s[46:47], vcc
	s_cbranch_execz .LBB0_988
; %bb.981:                              ;   in Loop: Header=BB0_639 Depth=2
	v_cmp_ne_u32_e32 vcc, 0, v3
	v_mov_b32_e32 v2, 0
	s_and_saveexec_b64 s[48:49], vcc
	s_cbranch_execz .LBB0_987
; %bb.982:                              ;   in Loop: Header=BB0_639 Depth=2
	v_bfe_u32 v2, v3, 23, 8
	v_sub_u32_e32 v22, 0x79, v2
	v_cmp_gt_u32_e32 vcc, s63, v2
	v_cndmask_b32_e32 v22, 0, v22, vcc
	v_cmp_eq_u32_e32 vcc, 0, v2
	v_or_b32_e32 v23, 0x800000, v42
	v_cndmask_b32_e32 v27, v22, v6, vcc
	v_add_u32_e32 v3, 0xffffff81, v2
	v_cndmask_b32_e32 v42, v23, v42, vcc
	v_add_u32_e32 v2, 20, v27
	v_cndmask_b32_e32 v24, v3, v30, vcc
	v_lshlrev_b64 v[2:3], v2, -1
	v_lshrrev_b64 v[48:49], v27, v[42:43]
	v_not_b32_e32 v3, v3
	v_not_b32_e32 v2, v2
	v_add_u32_e32 v22, 19, v27
	v_lshrrev_b32_e32 v31, 23, v48
	v_and_b32_e32 v3, 0, v3
	v_and_b32_e32 v2, v42, v2
	v_lshlrev_b64 v[22:23], v22, 1
	v_add3_u32 v31, v27, v24, v31
	v_bfe_u32 v24, v48, 20, 1
	v_add_u32_e32 v24, -1, v24
	v_cmp_eq_u64_e32 vcc, v[2:3], v[22:23]
	v_cndmask_b32_e32 v2, 0, v24, vcc
	v_add_u32_e32 v2, v2, v48
	v_and_b32_e32 v2, 0xfffff, v2
	v_add_co_u32_e32 v2, vcc, v2, v48
	v_add_u32_e32 v27, 6, v31
	v_addc_co_u32_e32 v3, vcc, 0, v49, vcc
	v_cmp_ne_u32_e32 vcc, 0, v27
                                        ; implicit-def: $vgpr24
	s_and_saveexec_b64 s[16:17], vcc
	s_xor_b64 s[16:17], exec, s[16:17]
; %bb.983:                              ;   in Loop: Header=BB0_639 Depth=2
	v_add_u32_e32 v22, 7, v31
	v_cmp_lt_u64_e32 vcc, s[40:41], v[2:3]
	v_cndmask_b32_e32 v24, v27, v22, vcc
	v_cndmask_b32_e64 v22, 0, 1, vcc
	v_lshrrev_b64 v[2:3], v22, v[2:3]
; %bb.984:                              ;   in Loop: Header=BB0_639 Depth=2
	s_andn2_saveexec_b64 s[16:17], s[16:17]
; %bb.985:                              ;   in Loop: Header=BB0_639 Depth=2
	v_bfe_u32 v24, v2, 23, 1
; %bb.986:                              ;   in Loop: Header=BB0_639 Depth=2
	s_or_b64 exec, exec, s[16:17]
	v_lshrrev_b64 v[2:3], 20, v[2:3]
	v_cmp_gt_i32_e32 vcc, 16, v24
	v_cndmask_b32_e32 v3, 0, v3, vcc
	v_cndmask_b32_e32 v2, 7, v2, vcc
	v_cmp_eq_u64_e64 s[16:17], 0, v[2:3]
	v_min_i32_e32 v3, 15, v24
	v_lshlrev_b32_e32 v3, 3, v3
	v_cmp_eq_u32_e32 vcc, 0, v24
	v_and_b32_e32 v3, 0xf8, v3
	v_and_or_b32 v2, v2, 7, v3
	s_and_b64 s[16:17], vcc, s[16:17]
	v_cndmask_b32_e64 v2, v2, 0, s[16:17]
	v_or_b32_e32 v2, v2, v4
.LBB0_987:                              ;   in Loop: Header=BB0_639 Depth=2
	s_or_b64 exec, exec, s[48:49]
.LBB0_988:                              ;   in Loop: Header=BB0_639 Depth=2
	s_or_b64 exec, exec, s[46:47]
                                        ; implicit-def: $vgpr3
.LBB0_989:                              ;   in Loop: Header=BB0_639 Depth=2
	s_andn2_saveexec_b64 s[16:17], s[44:45]
; %bb.990:                              ;   in Loop: Header=BB0_639 Depth=2
	v_or_b32_sdwa v3, v3, s62 dst_sel:DWORD dst_unused:UNUSED_PAD src0_sel:BYTE_3 src1_sel:DWORD
	v_cmp_eq_u64_e32 vcc, 0, v[42:43]
	v_cndmask_b32_e32 v2, v3, v2, vcc
; %bb.991:                              ;   in Loop: Header=BB0_639 Depth=2
	s_or_b64 exec, exec, s[16:17]
	v_lshlrev_b32_e32 v3, 8, v9
	v_lshlrev_b32_e32 v2, 24, v2
	;; [unrolled: 1-line block ×3, first 2 shown]
	v_perm_b32 v3, v3, v5, s65
	v_cmp_lt_u32_e32 vcc, 7, v32
	v_or3_b32 v3, v2, v3, v4
	v_cndmask_b32_e64 v2, 0, 1, vcc
	;;#ASMSTART
	;;#ASMEND
	v_cmp_ne_u32_e64 s[16:17], 0, v2
	s_cmp_lg_u64 s[16:17], exec
	s_mov_b64 s[16:17], -1
	s_cbranch_scc0 .LBB0_1001
; %bb.992:                              ;   in Loop: Header=BB0_639 Depth=2
	v_cmp_ne_u32_e64 s[16:17], 1, v32
	flat_store_byte v[0:1], v8
	s_and_saveexec_b64 s[44:45], s[16:17]
	s_cbranch_execnz .LBB0_1003
; %bb.993:                              ;   in Loop: Header=BB0_639 Depth=2
	s_or_b64 exec, exec, s[44:45]
	v_cmp_lt_u32_e64 s[16:17], 2, v32
	s_and_saveexec_b64 s[44:45], s[16:17]
	s_cbranch_execnz .LBB0_1004
.LBB0_994:                              ;   in Loop: Header=BB0_639 Depth=2
	s_or_b64 exec, exec, s[44:45]
	v_cmp_lt_u32_e64 s[16:17], 3, v32
	s_and_saveexec_b64 s[44:45], s[16:17]
	s_cbranch_execnz .LBB0_1005
.LBB0_995:                              ;   in Loop: Header=BB0_639 Depth=2
	s_or_b64 exec, exec, s[44:45]
	v_cmp_lt_u32_e64 s[16:17], 4, v32
	s_and_saveexec_b64 s[44:45], s[16:17]
	s_cbranch_execnz .LBB0_1006
.LBB0_996:                              ;   in Loop: Header=BB0_639 Depth=2
	s_or_b64 exec, exec, s[44:45]
	v_cmp_lt_u32_e64 s[16:17], 5, v32
	s_and_saveexec_b64 s[44:45], s[16:17]
	s_cbranch_execnz .LBB0_1007
.LBB0_997:                              ;   in Loop: Header=BB0_639 Depth=2
	s_or_b64 exec, exec, s[44:45]
	v_cmp_lt_u32_e64 s[16:17], 6, v32
	s_and_saveexec_b64 s[44:45], s[16:17]
	s_cbranch_execnz .LBB0_1008
.LBB0_998:                              ;   in Loop: Header=BB0_639 Depth=2
	s_or_b64 exec, exec, s[44:45]
	s_and_saveexec_b64 s[16:17], vcc
	s_cbranch_execz .LBB0_1000
.LBB0_999:                              ;   in Loop: Header=BB0_639 Depth=2
	v_lshrrev_b32_e32 v2, 24, v3
	flat_store_byte v[0:1], v2 offset:7
.LBB0_1000:                             ;   in Loop: Header=BB0_639 Depth=2
	s_or_b64 exec, exec, s[16:17]
	s_mov_b64 s[16:17], 0
.LBB0_1001:                             ;   in Loop: Header=BB0_639 Depth=2
	s_and_b64 vcc, exec, s[16:17]
	s_cbranch_vccz .LBB0_638
; %bb.1002:                             ;   in Loop: Header=BB0_639 Depth=2
	v_perm_b32 v4, v10, v11, s66
	v_lshlrev_b32_e32 v2, 8, v25
	v_perm_b32 v4, v4, v8, s69
	v_and_or_b32 v2, v2, s67, v4
	global_store_dwordx2 v[0:1], v[2:3], off
	s_branch .LBB0_638
.LBB0_1003:                             ;   in Loop: Header=BB0_639 Depth=2
	flat_store_byte v[0:1], v25 offset:1
	s_or_b64 exec, exec, s[44:45]
	v_cmp_lt_u32_e64 s[16:17], 2, v32
	s_and_saveexec_b64 s[44:45], s[16:17]
	s_cbranch_execz .LBB0_994
.LBB0_1004:                             ;   in Loop: Header=BB0_639 Depth=2
	flat_store_byte v[0:1], v11 offset:2
	s_or_b64 exec, exec, s[44:45]
	v_cmp_lt_u32_e64 s[16:17], 3, v32
	s_and_saveexec_b64 s[44:45], s[16:17]
	s_cbranch_execz .LBB0_995
.LBB0_1005:                             ;   in Loop: Header=BB0_639 Depth=2
	flat_store_byte v[0:1], v10 offset:3
	s_or_b64 exec, exec, s[44:45]
	v_cmp_lt_u32_e64 s[16:17], 4, v32
	s_and_saveexec_b64 s[44:45], s[16:17]
	s_cbranch_execz .LBB0_996
.LBB0_1006:                             ;   in Loop: Header=BB0_639 Depth=2
	flat_store_byte v[0:1], v5 offset:4
	s_or_b64 exec, exec, s[44:45]
	v_cmp_lt_u32_e64 s[16:17], 5, v32
	s_and_saveexec_b64 s[44:45], s[16:17]
	s_cbranch_execz .LBB0_997
.LBB0_1007:                             ;   in Loop: Header=BB0_639 Depth=2
	flat_store_byte v[0:1], v9 offset:5
	s_or_b64 exec, exec, s[44:45]
	v_cmp_lt_u32_e64 s[16:17], 6, v32
	s_and_saveexec_b64 s[44:45], s[16:17]
	s_cbranch_execz .LBB0_998
.LBB0_1008:                             ;   in Loop: Header=BB0_639 Depth=2
	flat_store_byte v[0:1], v21 offset:6
	s_or_b64 exec, exec, s[44:45]
	s_and_saveexec_b64 s[16:17], vcc
	s_cbranch_execnz .LBB0_999
	s_branch .LBB0_1000
.LBB0_1009:                             ;   in Loop: Header=BB0_27 Depth=1
	s_or_b64 exec, exec, s[42:43]
	v_accvgpr_read_b32 v2, a10
	v_accvgpr_read_b32 v8, a44
	;; [unrolled: 1-line block ×5, first 2 shown]
.LBB0_1010:                             ;   in Loop: Header=BB0_27 Depth=1
	s_or_b64 exec, exec, s[18:19]
	s_and_saveexec_b64 s[16:17], s[10:11]
	s_cbranch_execnz .LBB0_1012
; %bb.1011:                             ;   in Loop: Header=BB0_27 Depth=1
	s_or_b64 exec, exec, s[16:17]
	s_and_saveexec_b64 s[16:17], s[14:15]
	s_cbranch_execz .LBB0_26
	s_branch .LBB0_1030
.LBB0_1012:                             ;   in Loop: Header=BB0_27 Depth=1
	s_and_saveexec_b64 s[18:19], s[28:29]
	s_xor_b64 s[18:19], exec, s[18:19]
	s_cbranch_execz .LBB0_1027
; %bb.1013:                             ;   in Loop: Header=BB0_27 Depth=1
	s_and_saveexec_b64 s[42:43], s[12:13]
	s_cbranch_execz .LBB0_1026
; %bb.1014:                             ;   in Loop: Header=BB0_27 Depth=1
	s_mov_b64 s[46:47], exec
	v_mbcnt_lo_u32_b32 v0, s46, 0
	v_mbcnt_hi_u32_b32 v0, s47, v0
	v_cmp_eq_u32_e32 vcc, 0, v0
	s_waitcnt vmcnt(0) lgkmcnt(0)
	buffer_wbinvl1_vol
	s_and_saveexec_b64 s[44:45], vcc
	s_cbranch_execz .LBB0_1016
; %bb.1015:                             ;   in Loop: Header=BB0_27 Depth=1
	s_bcnt1_i32_b64 vcc_lo, s[46:47]
	v_mov_b32_e32 v42, vcc_lo
	ds_add_u64 v0, v[42:43]
	s_trap 2
.LBB0_1016:                             ;   in Loop: Header=BB0_27 Depth=1
	s_or_b64 exec, exec, s[44:45]
	s_trap 2
	ds_read_b64 v[0:1], v0
	v_accvgpr_read_b32 v4, a32
	v_add_co_u32_e32 v54, vcc, v54, v4
	v_accvgpr_read_b32 v5, a29
	v_addc_co_u32_e32 v55, vcc, v55, v5, vcc
	s_waitcnt lgkmcnt(0)
	v_cmp_lt_u64_e32 vcc, v[0:1], v[54:55]
	s_and_saveexec_b64 s[44:45], vcc
	s_cbranch_execz .LBB0_1025
; %bb.1017:                             ;   in Loop: Header=BB0_27 Depth=1
	s_mov_b32 s56, 0
	s_mov_b64 s[46:47], 0
                                        ; implicit-def: $sgpr48_sgpr49
                                        ; implicit-def: $sgpr50_sgpr51
	s_branch .LBB0_1019
.LBB0_1018:                             ;   in Loop: Header=BB0_1019 Depth=2
	s_or_b64 exec, exec, s[54:55]
	s_and_b64 vcc, exec, vcc
	s_or_b64 s[46:47], vcc, s[46:47]
	s_andn2_b64 vcc, s[48:49], exec
	s_and_b64 s[48:49], s[50:51], exec
	s_or_b64 s[48:49], vcc, s[48:49]
	s_andn2_b64 exec, exec, s[46:47]
	s_cbranch_execz .LBB0_1023
.LBB0_1019:                             ;   Parent Loop BB0_27 Depth=1
                                        ; =>  This Inner Loop Header: Depth=2
	s_add_i32 s56, s56, 1
	s_cmpk_lg_i32 s56, 0x2710
	s_cselect_b64 s[52:53], -1, 0
	s_and_b64 vcc, exec, s[52:53]
                                        ; implicit-def: $sgpr54_sgpr55
	s_cbranch_vccnz .LBB0_1021
; %bb.1020:                             ;   in Loop: Header=BB0_1019 Depth=2
	s_trap 2
	ds_read_b64 v[0:1], v0
	s_andn2_b64 s[52:53], s[52:53], exec
	s_mov_b32 s56, 0
	s_mov_b64 s[54:55], -1
	s_waitcnt lgkmcnt(0)
	flat_load_dword v0, v[0:1] glc
	s_waitcnt vmcnt(0) lgkmcnt(0)
	buffer_invl2
	buffer_wbinvl1_vol
	v_cmp_eq_u32_e32 vcc, 0, v0
	s_and_b64 vcc, vcc, exec
	s_or_b64 s[52:53], s[52:53], vcc
.LBB0_1021:                             ;   in Loop: Header=BB0_1019 Depth=2
	s_andn2_b64 s[50:51], s[50:51], exec
	s_and_b64 s[54:55], s[54:55], exec
	s_mov_b64 vcc, -1
	s_or_b64 s[50:51], s[50:51], s[54:55]
	s_and_saveexec_b64 s[54:55], s[52:53]
	s_cbranch_execz .LBB0_1018
; %bb.1022:                             ;   in Loop: Header=BB0_1019 Depth=2
	s_sleep 1
	s_trap 2
	ds_read_b64 v[0:1], v0
	s_andn2_b64 s[50:51], s[50:51], exec
	s_waitcnt lgkmcnt(0)
	v_cmp_ge_u64_e32 vcc, v[0:1], v[54:55]
	s_orn2_b64 vcc, vcc, exec
	s_branch .LBB0_1018
.LBB0_1023:                             ;   in Loop: Header=BB0_27 Depth=1
	s_or_b64 exec, exec, s[46:47]
	s_and_saveexec_b64 vcc, s[48:49]
	s_xor_b64 vcc, exec, vcc
	s_cbranch_execz .LBB0_1025
; %bb.1024:                             ;   in Loop: Header=BB0_27 Depth=1
	v_mov_b32_e32 v0, 1
	ds_write_b32 v0, v0
	s_trap 2
.LBB0_1025:                             ;   in Loop: Header=BB0_27 Depth=1
	s_or_b64 exec, exec, s[44:45]
	;;#ASMSTART
	s_wakeup
	;;#ASMEND
.LBB0_1026:                             ;   in Loop: Header=BB0_27 Depth=1
	s_or_b64 exec, exec, s[42:43]
.LBB0_1027:                             ;   in Loop: Header=BB0_27 Depth=1
	s_andn2_saveexec_b64 s[18:19], s[18:19]
	s_cbranch_execz .LBB0_1029
; %bb.1028:                             ;   in Loop: Header=BB0_27 Depth=1
	s_waitcnt vmcnt(0) lgkmcnt(0)
	buffer_wbinvl1_vol
	s_barrier
.LBB0_1029:                             ;   in Loop: Header=BB0_27 Depth=1
	s_or_b64 exec, exec, s[18:19]
	s_or_b64 exec, exec, s[16:17]
	s_and_saveexec_b64 s[16:17], s[14:15]
	s_cbranch_execz .LBB0_26
.LBB0_1030:                             ;   in Loop: Header=BB0_27 Depth=1
	v_accvgpr_read_b32 v0, a22
	v_accvgpr_read_b32 v1, a23
	v_add_co_u32_e32 v0, vcc, 1, v0
	v_accvgpr_read_b32 v2, a24
	v_addc_co_u32_e32 v1, vcc, 0, v1, vcc
	v_accvgpr_read_b32 v3, a25
	v_accvgpr_write_b32 a23, v1
	flat_store_dwordx2 v[2:3], v[0:1]
	v_accvgpr_read_b32 v2, a10
	v_accvgpr_write_b32 a22, v0
	v_accvgpr_read_b32 v3, a11
	s_branch .LBB0_26
.LBB0_1031:
	s_or_b64 exec, exec, s[26:27]
	v_accvgpr_read_b32 v27, a15
	v_accvgpr_read_b32 v29, a17
	;; [unrolled: 1-line block ×6, first 2 shown]
.LBB0_1032:
	s_or_b64 exec, exec, s[24:25]
; %bb.1033:
	s_and_saveexec_b64 s[6:7], s[22:23]
	s_cbranch_execnz .LBB0_1036
; %bb.1034:
	s_or_b64 exec, exec, s[6:7]
	s_and_saveexec_b64 s[6:7], s[4:5]
	s_cbranch_execnz .LBB0_1037
.LBB0_1035:
	s_or_b64 exec, exec, s[6:7]
	v_cmp_ne_u32_e32 vcc, 64, v20
	s_and_saveexec_b64 s[4:5], vcc
	s_cbranch_execnz .LBB0_1038
	s_branch .LBB0_1055
.LBB0_1036:
	s_waitcnt vmcnt(0) lgkmcnt(0)
	flat_store_dwordx2 v[28:29], a[22:23] offset:104
	s_or_b64 exec, exec, s[6:7]
	s_and_saveexec_b64 s[6:7], s[4:5]
	s_cbranch_execz .LBB0_1035
.LBB0_1037:
	s_waitcnt vmcnt(0) lgkmcnt(0)
	flat_store_dwordx2 v[26:27], v[14:15] offset:104
	s_or_b64 exec, exec, s[6:7]
	v_cmp_ne_u32_e32 vcc, 64, v20
	s_and_saveexec_b64 s[4:5], vcc
	s_cbranch_execz .LBB0_1055
.LBB0_1038:
	s_waitcnt vmcnt(0)
	v_cmp_ne_u32_sdwa s[6:7], v9, v20 src0_sel:WORD_0 src1_sel:DWORD
	s_and_saveexec_b64 s[8:9], s[6:7]
	s_xor_b64 s[6:7], exec, s[8:9]
	s_cbranch_execz .LBB0_1053
; %bb.1039:
	v_and_b32_e32 v0, 63, v31
	v_cmp_eq_u32_e32 vcc, 0, v0
	s_and_saveexec_b64 s[8:9], vcc
	s_cbranch_execz .LBB0_1052
; %bb.1040:
	s_mov_b64 s[12:13], exec
	v_mbcnt_lo_u32_b32 v0, s12, 0
	v_mbcnt_hi_u32_b32 v0, s13, v0
	v_cmp_eq_u32_e32 vcc, 0, v0
	s_waitcnt lgkmcnt(0)
	buffer_wbinvl1_vol
	s_and_saveexec_b64 s[10:11], vcc
	s_cbranch_execz .LBB0_1042
; %bb.1041:
	s_bcnt1_i32_b64 s12, s[12:13]
	v_mov_b32_e32 v0, s12
	v_mov_b32_e32 v1, 0
	ds_add_u64 v0, v[0:1]
	s_trap 2
.LBB0_1042:
	s_or_b64 exec, exec, s[10:11]
	v_ashrrev_i32_e32 v0, 31, v20
	v_lshrrev_b32_e32 v0, 26, v0
	v_add_u32_e32 v0, v20, v0
	v_ashrrev_i32_e32 v0, 6, v0
	s_trap 2
	ds_read_b64 v[2:3], v0
	v_ashrrev_i32_e32 v1, 31, v0
	v_add_co_u32_e32 v0, vcc, v54, v0
	v_addc_co_u32_e32 v1, vcc, v55, v1, vcc
	s_waitcnt lgkmcnt(0)
	v_cmp_lt_u64_e32 vcc, v[2:3], v[0:1]
	s_and_saveexec_b64 s[10:11], vcc
	s_cbranch_execz .LBB0_1051
; %bb.1043:
	s_mov_b32 s24, 0
	s_mov_b64 s[12:13], 0
                                        ; implicit-def: $sgpr14_sgpr15
                                        ; implicit-def: $sgpr16_sgpr17
	s_branch .LBB0_1045
.LBB0_1044:                             ;   in Loop: Header=BB0_1045 Depth=1
	s_or_b64 exec, exec, s[22:23]
	s_and_b64 s[18:19], exec, s[20:21]
	s_or_b64 s[12:13], s[18:19], s[12:13]
	s_andn2_b64 s[14:15], s[14:15], exec
	s_and_b64 s[18:19], s[16:17], exec
	s_or_b64 s[14:15], s[14:15], s[18:19]
	s_andn2_b64 exec, exec, s[12:13]
	s_cbranch_execz .LBB0_1049
.LBB0_1045:                             ; =>This Inner Loop Header: Depth=1
	s_add_i32 s24, s24, 1
	s_cmpk_lg_i32 s24, 0x2710
	s_cselect_b64 s[18:19], -1, 0
	s_and_b64 vcc, exec, s[18:19]
                                        ; implicit-def: $sgpr22_sgpr23
	s_cbranch_vccnz .LBB0_1047
; %bb.1046:                             ;   in Loop: Header=BB0_1045 Depth=1
	s_trap 2
	ds_read_b64 v[2:3], v0
	s_andn2_b64 s[18:19], s[18:19], exec
	s_mov_b32 s24, 0
	s_mov_b64 s[22:23], -1
	s_waitcnt lgkmcnt(0)
	flat_load_dword v2, v[2:3] glc
	s_waitcnt vmcnt(0) lgkmcnt(0)
	buffer_invl2
	buffer_wbinvl1_vol
	v_cmp_eq_u32_e32 vcc, 0, v2
	s_and_b64 s[20:21], vcc, exec
	s_or_b64 s[18:19], s[18:19], s[20:21]
.LBB0_1047:                             ;   in Loop: Header=BB0_1045 Depth=1
	s_andn2_b64 s[16:17], s[16:17], exec
	s_and_b64 s[22:23], s[22:23], exec
	s_mov_b64 s[20:21], -1
	s_or_b64 s[16:17], s[16:17], s[22:23]
	s_and_saveexec_b64 s[22:23], s[18:19]
	s_cbranch_execz .LBB0_1044
; %bb.1048:                             ;   in Loop: Header=BB0_1045 Depth=1
	s_sleep 1
	s_trap 2
	ds_read_b64 v[2:3], v0
	s_andn2_b64 s[16:17], s[16:17], exec
	s_waitcnt lgkmcnt(0)
	v_cmp_ge_u64_e32 vcc, v[2:3], v[0:1]
	s_orn2_b64 s[20:21], vcc, exec
	s_branch .LBB0_1044
.LBB0_1049:
	s_or_b64 exec, exec, s[12:13]
	s_and_saveexec_b64 s[12:13], s[14:15]
	s_xor_b64 s[12:13], exec, s[12:13]
	s_cbranch_execz .LBB0_1051
; %bb.1050:
	v_mov_b32_e32 v0, 1
	ds_write_b32 v0, v0
	s_trap 2
.LBB0_1051:
	s_or_b64 exec, exec, s[10:11]
	;;#ASMSTART
	s_wakeup
	;;#ASMEND
.LBB0_1052:
	s_or_b64 exec, exec, s[8:9]
.LBB0_1053:
	s_andn2_saveexec_b64 s[6:7], s[6:7]
	s_cbranch_execz .LBB0_1055
; %bb.1054:
	s_waitcnt lgkmcnt(0)
	buffer_wbinvl1_vol
	s_barrier
.LBB0_1055:
	s_or_b64 exec, exec, s[4:5]
	buffer_load_dword a51, off, s[0:3], s32 ; 4-byte Folded Reload
	buffer_load_dword a50, off, s[0:3], s32 offset:4 ; 4-byte Folded Reload
	buffer_load_dword a48, off, s[0:3], s32 offset:8 ; 4-byte Folded Reload
	buffer_load_dword a47, off, s[0:3], s32 offset:12 ; 4-byte Folded Reload
	buffer_load_dword a46, off, s[0:3], s32 offset:16 ; 4-byte Folded Reload
	buffer_load_dword a45, off, s[0:3], s32 offset:20 ; 4-byte Folded Reload
	buffer_load_dword a44, off, s[0:3], s32 offset:24 ; 4-byte Folded Reload
	buffer_load_dword a43, off, s[0:3], s32 offset:28 ; 4-byte Folded Reload
	buffer_load_dword a42, off, s[0:3], s32 offset:32 ; 4-byte Folded Reload
	buffer_load_dword a41, off, s[0:3], s32 offset:36 ; 4-byte Folded Reload
	buffer_load_dword a40, off, s[0:3], s32 offset:40 ; 4-byte Folded Reload
	buffer_load_dword a39, off, s[0:3], s32 offset:44 ; 4-byte Folded Reload
	buffer_load_dword a38, off, s[0:3], s32 offset:48 ; 4-byte Folded Reload
	buffer_load_dword a37, off, s[0:3], s32 offset:52 ; 4-byte Folded Reload
	buffer_load_dword a36, off, s[0:3], s32 offset:56 ; 4-byte Folded Reload
	buffer_load_dword a35, off, s[0:3], s32 offset:60 ; 4-byte Folded Reload
	buffer_load_dword a34, off, s[0:3], s32 offset:64 ; 4-byte Folded Reload
	buffer_load_dword a33, off, s[0:3], s32 offset:68 ; 4-byte Folded Reload
	buffer_load_dword a32, off, s[0:3], s32 offset:72 ; 4-byte Folded Reload
	buffer_load_dword v62, off, s[0:3], s32 offset:76 ; 4-byte Folded Reload
	buffer_load_dword v61, off, s[0:3], s32 offset:80 ; 4-byte Folded Reload
	buffer_load_dword v60, off, s[0:3], s32 offset:84 ; 4-byte Folded Reload
	buffer_load_dword v59, off, s[0:3], s32 offset:88 ; 4-byte Folded Reload
	buffer_load_dword v58, off, s[0:3], s32 offset:92 ; 4-byte Folded Reload
	buffer_load_dword v57, off, s[0:3], s32 offset:96 ; 4-byte Folded Reload
	buffer_load_dword v56, off, s[0:3], s32 offset:100 ; 4-byte Folded Reload
	buffer_load_dword v47, off, s[0:3], s32 offset:104 ; 4-byte Folded Reload
	buffer_load_dword v46, off, s[0:3], s32 offset:108 ; 4-byte Folded Reload
	buffer_load_dword v45, off, s[0:3], s32 offset:112 ; 4-byte Folded Reload
	buffer_load_dword v44, off, s[0:3], s32 offset:116 ; 4-byte Folded Reload
	buffer_load_dword v43, off, s[0:3], s32 offset:120 ; 4-byte Folded Reload
	buffer_load_dword v42, off, s[0:3], s32 offset:124 ; 4-byte Folded Reload
	buffer_load_dword v41, off, s[0:3], s32 offset:128 ; 4-byte Folded Reload
	buffer_load_dword v40, off, s[0:3], s32 offset:132 ; 4-byte Folded Reload
	v_readlane_b32 s30, v63, 38
	v_readlane_b32 s31, v63, 39
	;; [unrolled: 1-line block ×40, first 2 shown]
	s_or_saveexec_b64 s[4:5], -1
	buffer_load_dword v63, off, s[0:3], s32 offset:136 ; 4-byte Folded Reload
	s_mov_b64 exec, s[4:5]
	s_waitcnt vmcnt(0) lgkmcnt(0)
	s_setpc_b64 s[30:31]
.Lfunc_end0:
	.size	_ZN12_GLOBAL__N_17runRingI14__hip_fp8_e4m313FuncPreMulSumIS1_E7ProtoLLLi0ELi1ELi0EEEviiP15ncclDevWorkColl, .Lfunc_end0-_ZN12_GLOBAL__N_17runRingI14__hip_fp8_e4m313FuncPreMulSumIS1_E7ProtoLLLi0ELi1ELi0EEEviiP15ncclDevWorkColl
                                        ; -- End function
	.section	.AMDGPU.csdata,"",@progbits
; Function info:
; codeLenInByte = 35420
; NumSgprs: 76
; NumVgprs: 64
; NumAgprs: 52
; TotalNumVgprs: 116
; ScratchSize: 144
; MemoryBound: 0
	.text
	.p2align	2                               ; -- Begin function _Z56ncclDevFunc_ReduceScatter_RING_LL_PreMulSum_f8e4m3_0_0_1v
	.type	_Z56ncclDevFunc_ReduceScatter_RING_LL_PreMulSum_f8e4m3_0_0_1v,@function
_Z56ncclDevFunc_ReduceScatter_RING_LL_PreMulSum_f8e4m3_0_0_1v: ; @_Z56ncclDevFunc_ReduceScatter_RING_LL_PreMulSum_f8e4m3_0_0_1v
; %bb.0:
	s_waitcnt vmcnt(0) expcnt(0) lgkmcnt(0)
	s_mov_b32 s4, s33
	s_mov_b32 s33, s32
	s_or_saveexec_b64 s[6:7], -1
	buffer_store_dword v43, off, s[0:3], s33 offset:16 ; 4-byte Folded Spill
	s_mov_b64 exec, s[6:7]
	v_writelane_b32 v43, s4, 48
	s_addk_i32 s32, 0x800
	buffer_store_dword v40, off, s[0:3], s33 offset:12 ; 4-byte Folded Spill
	buffer_store_dword v41, off, s[0:3], s33 offset:8 ; 4-byte Folded Spill
	;; [unrolled: 1-line block ×3, first 2 shown]
	buffer_store_dword v63, off, s[0:3], s33 ; 4-byte Folded Spill
	v_writelane_b32 v43, s34, 0
	v_writelane_b32 v43, s35, 1
	;; [unrolled: 1-line block ×48, first 2 shown]
	s_trap 2
	ds_read_b32 v0, v0
	v_mov_b32_e32 v40, v31
	v_and_b32_e32 v41, 0x3ff, v40
	s_mov_b32 s74, s12
	s_mov_b64 s[72:73], s[8:9]
	s_waitcnt lgkmcnt(0)
	v_cmp_lt_i32_e32 vcc, v41, v0
	s_and_saveexec_b64 s[4:5], vcc
	s_cbranch_execz .LBB1_5
; %bb.1:
	s_load_dword s6, s[72:73], 0x0
	v_mov_b32_e32 v1, 0
	s_mov_b32 s10, 0
	v_mov_b32_e32 v4, v41
                                        ; implicit-def: $vgpr2
	s_waitcnt lgkmcnt(0)
	s_cmp_lt_u32 s74, s6
	s_cselect_b32 s6, 12, 18
	s_add_u32 s6, s72, s6
	s_addc_u32 s7, s73, 0
	global_load_ushort v1, v1, s[6:7]
	s_trap 2
	ds_read_b32 v3, v0
	s_mov_b64 s[6:7], 0
	s_waitcnt vmcnt(0) lgkmcnt(0)
	v_mul_lo_u32 v3, v3, v1
	s_branch .LBB1_3
.LBB1_2:                                ;   in Loop: Header=BB1_3 Depth=1
	s_or_b64 exec, exec, s[8:9]
	v_add_u32_e32 v4, v4, v1
	v_cmp_ge_i32_e32 vcc, v4, v0
	s_or_b64 s[6:7], vcc, s[6:7]
	v_add_u32_e32 v2, v2, v3
	s_andn2_b64 exec, exec, s[6:7]
	s_cbranch_execz .LBB1_5
.LBB1_3:                                ; =>This Inner Loop Header: Depth=1
	ds_read_b32 v5, v2
	s_waitcnt lgkmcnt(0)
	v_and_b32_e32 v5, 0x1000000, v5
	v_cmp_ne_u32_e32 vcc, 0, v5
	s_and_saveexec_b64 s[8:9], vcc
	s_cbranch_execz .LBB1_2
; %bb.4:                                ;   in Loop: Header=BB1_3 Depth=1
	ds_read_b64 v[6:7], v2 offset:104
	s_waitcnt lgkmcnt(0)
	flat_load_ubyte v5, v[6:7]
	v_mov_b32_e32 v7, s10
	s_waitcnt vmcnt(0) lgkmcnt(0)
	v_and_b32_e32 v6, 0xffff, v5
	ds_write_b64 v2, v[6:7] offset:104
	s_branch .LBB1_2
.LBB1_5:
	s_or_b64 exec, exec, s[4:5]
	s_waitcnt lgkmcnt(0)
	s_barrier
	s_trap 2
	ds_read_b32 v0, v0
	s_waitcnt lgkmcnt(0)
	v_cmp_gt_i32_e32 vcc, 1, v0
	s_cbranch_vccnz .LBB1_13
; %bb.6:
	s_mov_b32 s75, 0
	s_mov_b64 s[76:77], src_shared_base
	v_mov_b32_e32 v42, 6
	s_branch .LBB1_8
.LBB1_7:                                ;   in Loop: Header=BB1_8 Depth=1
	s_or_b64 exec, exec, s[78:79]
	s_trap 2
	ds_read_b32 v0, v0
	s_add_i32 s75, s75, 1
	s_waitcnt lgkmcnt(0)
	v_cmp_lt_i32_e32 vcc, s75, v0
	s_cbranch_vccz .LBB1_13
.LBB1_8:                                ; =>This Inner Loop Header: Depth=1
	s_trap 2
	ds_read_b32 v0, v0
	s_cmp_eq_u32 s75, 0
	s_cbranch_scc1 .LBB1_11
; %bb.9:                                ;   in Loop: Header=BB1_8 Depth=1
	s_trap 2
	s_waitcnt lgkmcnt(0)
	ds_read_b32 v1, v0
	s_waitcnt lgkmcnt(0)
	v_xor_b32_e32 v1, v1, v0
	v_and_b32_e32 v1, 0xff0000, v1
	v_cmp_eq_u32_e32 vcc, 0, v1
	s_cbranch_vccnz .LBB1_11
; %bb.10:                               ;   in Loop: Header=BB1_8 Depth=1
	s_barrier
	ds_read_b32 v0, v0
.LBB1_11:                               ;   in Loop: Header=BB1_8 Depth=1
	s_waitcnt lgkmcnt(0)
	v_lshlrev_b32_sdwa v1, v42, v0 dst_sel:DWORD dst_unused:UNUSED_PAD src0_sel:DWORD src1_sel:BYTE_2
	v_cmp_lt_u32_e32 vcc, v41, v1
	s_and_saveexec_b64 s[78:79], vcc
	s_cbranch_execz .LBB1_7
; %bb.12:                               ;   in Loop: Header=BB1_8 Depth=1
	s_mov_b64 s[8:9], s[72:73]
	s_mov_b32 s12, s74
	v_mov_b32_e32 v31, v40
	v_mov_b32_e32 v0, v41
	v_mov_b32_e32 v3, s77
	s_getpc_b64 s[4:5]
	s_add_u32 s4, s4, _ZN12_GLOBAL__N_17runRingI14__hip_fp8_e4m313FuncPreMulSumIS1_E7ProtoLLLi0ELi1ELi0EEEviiP15ncclDevWorkColl@rel32@lo+4
	s_addc_u32 s5, s5, _ZN12_GLOBAL__N_17runRingI14__hip_fp8_e4m313FuncPreMulSumIS1_E7ProtoLLLi0ELi1ELi0EEEviiP15ncclDevWorkColl@rel32@hi+12
	s_swappc_b64 s[30:31], s[4:5]
	s_branch .LBB1_7
.LBB1_13:
	buffer_load_dword v63, off, s[0:3], s33 ; 4-byte Folded Reload
	buffer_load_dword v42, off, s[0:3], s33 offset:4 ; 4-byte Folded Reload
	buffer_load_dword v41, off, s[0:3], s33 offset:8 ; 4-byte Folded Reload
	;; [unrolled: 1-line block ×3, first 2 shown]
	v_readlane_b32 s30, v43, 46
	v_readlane_b32 s31, v43, 47
	;; [unrolled: 1-line block ×49, first 2 shown]
	s_or_saveexec_b64 s[6:7], -1
	buffer_load_dword v43, off, s[0:3], s33 offset:16 ; 4-byte Folded Reload
	s_mov_b64 exec, s[6:7]
	s_addk_i32 s32, 0xf800
	s_mov_b32 s33, s4
	s_waitcnt vmcnt(0)
	s_setpc_b64 s[30:31]
.Lfunc_end1:
	.size	_Z56ncclDevFunc_ReduceScatter_RING_LL_PreMulSum_f8e4m3_0_0_1v, .Lfunc_end1-_Z56ncclDevFunc_ReduceScatter_RING_LL_PreMulSum_f8e4m3_0_0_1v
                                        ; -- End function
	.section	.AMDGPU.csdata,"",@progbits
; Function info:
; codeLenInByte = 1376
; NumSgprs: 84
; NumVgprs: 64
; NumAgprs: 52
; TotalNumVgprs: 116
; ScratchSize: 176
; MemoryBound: 0
	.text
	.p2align	2                               ; -- Begin function _ZN12_GLOBAL__N_17runRingI14__hip_fp8_e4m313FuncPreMulSumIS1_E7ProtoLLLi0ELi2ELi0EEEviiP15ncclDevWorkColl
	.type	_ZN12_GLOBAL__N_17runRingI14__hip_fp8_e4m313FuncPreMulSumIS1_E7ProtoLLLi0ELi2ELi0EEEviiP15ncclDevWorkColl,@function
_ZN12_GLOBAL__N_17runRingI14__hip_fp8_e4m313FuncPreMulSumIS1_E7ProtoLLLi0ELi2ELi0EEEviiP15ncclDevWorkColl: ; @_ZN12_GLOBAL__N_17runRingI14__hip_fp8_e4m313FuncPreMulSumIS1_E7ProtoLLLi0ELi2ELi0EEEviiP15ncclDevWorkColl
; %bb.0:
	s_waitcnt vmcnt(0) expcnt(0) lgkmcnt(0)
	s_or_saveexec_b64 s[4:5], -1
	buffer_store_dword v63, off, s[0:3], s32 offset:136 ; 4-byte Folded Spill
	s_mov_b64 exec, s[4:5]
	buffer_store_dword v40, off, s[0:3], s32 offset:132 ; 4-byte Folded Spill
	buffer_store_dword v41, off, s[0:3], s32 offset:128 ; 4-byte Folded Spill
	;; [unrolled: 1-line block ×33, first 2 shown]
	buffer_store_dword a51, off, s[0:3], s32 ; 4-byte Folded Spill
	v_writelane_b32 v63, s34, 0
	v_writelane_b32 v63, s35, 1
	;; [unrolled: 1-line block ×40, first 2 shown]
	s_trap 2
	flat_load_dword v7, v[2:3]
	flat_load_dwordx4 v[22:25], v[2:3] offset:72
	flat_load_dwordx2 v[18:19], v[2:3] offset:88
	ds_read_b32 v5, v0
	ds_read_b64 a[6:7], v0
	v_mov_b32_e32 v20, v1
                                        ; implicit-def: $agpr8_agpr9
	s_waitcnt lgkmcnt(0)
	v_readfirstlane_b32 s20, v5
	s_waitcnt vmcnt(0)
	v_not_b32_sdwa v6, v7 dst_sel:DWORD dst_unused:UNUSED_PAD src0_sel:BYTE_0
	v_add_u32_sdwa v4, v7, v6 dst_sel:DWORD dst_unused:UNUSED_PAD src0_sel:BYTE_1 src1_sel:DWORD
	v_ashrrev_i32_e32 v10, 31, v4
	v_mul_lo_u32 v11, v25, v4
	v_mad_u64_u32 v[8:9], s[4:5], v24, v4, 0
	v_mul_lo_u32 v4, v24, v10
	v_add3_u32 v4, v9, v4, v11
	v_cmp_ne_u32_sdwa s[4:5], v7, v5 src0_sel:BYTE_0 src1_sel:DWORD
                                        ; implicit-def: $vgpr10_vgpr11
	s_and_saveexec_b64 s[6:7], s[4:5]
	s_xor_b64 s[4:5], exec, s[6:7]
	s_cbranch_execz .LBB2_6
; %bb.1:
	v_cmp_ne_u32_sdwa s[6:7], v7, v5 src0_sel:BYTE_1 src1_sel:DWORD
                                        ; implicit-def: $vgpr10_vgpr11
                                        ; implicit-def: $agpr8_agpr9
	s_and_saveexec_b64 s[10:11], s[6:7]
	s_xor_b64 s[6:7], exec, s[10:11]
	s_cbranch_execz .LBB2_3
; %bb.2:
	flat_load_dwordx2 v[10:11], v[2:3] offset:96
	v_add_u32_e32 v5, v5, v6
	v_ashrrev_i32_e32 v6, 31, v5
	v_mul_lo_u32 v6, v24, v6
	v_mul_lo_u32 v7, v25, v5
	v_mad_u64_u32 v[12:13], s[10:11], v24, v5, v[22:23]
	v_add3_u32 v13, v7, v13, v6
	v_accvgpr_write_b32 a8, v12
	v_accvgpr_write_b32 a9, v13
	s_waitcnt vmcnt(0) lgkmcnt(0)
	v_lshrrev_b64 v[10:11], 17, v[10:11]
.LBB2_3:
	s_andn2_saveexec_b64 s[6:7], s[6:7]
	s_cbranch_execz .LBB2_5
; %bb.4:
	flat_load_dword v5, v[2:3] offset:100
	v_add_co_u32_e32 v6, vcc, v8, v22
	v_addc_co_u32_e32 v7, vcc, v4, v23, vcc
	v_accvgpr_write_b32 a9, v7
	v_accvgpr_write_b32 a8, v6
	v_pk_mov_b32 v[24:25], v[18:19], v[18:19] op_sel:[0,1]
	s_waitcnt vmcnt(0) lgkmcnt(0)
	v_lshrrev_b32_e32 v10, 6, v5
.LBB2_5:
	s_or_b64 exec, exec, s[6:7]
.LBB2_6:
	s_andn2_saveexec_b64 s[4:5], s[4:5]
	s_cbranch_execz .LBB2_8
; %bb.7:
	flat_load_dwordx2 v[6:7], v[2:3] offset:96
	v_pk_mov_b32 v[10:11], 0, 0
	v_accvgpr_write_b32 a8, v10
	v_accvgpr_write_b32 a9, v11
	v_pk_mov_b32 v[24:25], v[22:23], v[22:23] op_sel:[0,1]
	s_waitcnt vmcnt(0) lgkmcnt(0)
	v_lshlrev_b64 v[10:11], 4, v[6:7]
.LBB2_8:
	s_or_b64 exec, exec, s[4:5]
	flat_load_dwordx2 v[14:15], v[2:3] offset:104
	flat_load_dwordx4 a[10:13], v[2:3] offset:16
	flat_load_ushort v13, v[2:3] offset:8
	flat_load_dword v12, v[2:3] offset:4
	v_mov_b32_e32 v2, 0
	s_mov_b32 s13, 0
	v_mov_b32_e32 v62, 0
	s_waitcnt vmcnt(0) lgkmcnt(0)
	v_cmp_ne_u16_sdwa s[6:7], v14, v2 src0_sel:BYTE_0 src1_sel:DWORD
	s_and_saveexec_b64 s[4:5], s[6:7]
	s_cbranch_execz .LBB2_14
; %bb.9:
	s_movk_i32 s6, 0x80
	v_cmp_ne_u16_sdwa s[10:11], v14, s6 src0_sel:BYTE_0 src1_sel:DWORD
	v_bfrev_b32_e32 v62, 1
	s_and_saveexec_b64 s[6:7], s[10:11]
	s_cbranch_execz .LBB2_13
; %bb.10:
	s_movk_i32 s10, 0x7f
	v_and_b32_e32 v3, 0x7f, v14
	v_cmp_ne_u32_e32 vcc, s10, v3
	v_mov_b32_e32 v62, 0x7f800001
	s_and_saveexec_b64 s[10:11], vcc
	s_cbranch_execz .LBB2_12
; %bb.11:
	v_and_b32_e32 v5, 7, v14
	v_ffbh_u32_e32 v5, v5
	v_min_u32_e32 v5, 32, v5
	v_lshrrev_b32_e32 v6, 3, v3
	v_subrev_u32_e32 v7, 28, v5
	v_sub_u32_e32 v5, 29, v5
	v_cmp_gt_u32_e32 vcc, 8, v3
	v_cndmask_b32_e32 v3, v6, v5, vcc
	v_cndmask_b32_e32 v5, 0, v7, vcc
	v_lshlrev_b64 v[6:7], v5, v[14:15]
	v_lshlrev_b32_e32 v5, 20, v6
	v_lshlrev_b32_e32 v6, 24, v14
	v_bfrev_b32_e32 v7, 60
	v_and_b32_e32 v5, 0x700000, v5
	v_and_b32_e32 v6, 0x80000000, v6
	v_lshl_add_u32 v3, v3, 23, v7
	v_or3_b32 v62, v6, v3, v5
.LBB2_12:
	s_or_b64 exec, exec, s[10:11]
.LBB2_13:
	s_or_b64 exec, exec, s[6:7]
.LBB2_14:
	s_or_b64 exec, exec, s[4:5]
	s_load_dword s4, s[8:9], 0x0
	v_lshrrev_b64 v[6:7], 31, v[12:13]
	v_mov_b32_e32 v12, v0
	v_and_b32_e32 v5, 63, v12
	v_and_b32_e32 v6, 3, v6
	s_waitcnt lgkmcnt(0)
	s_cmp_lt_u32 s12, s4
	s_cselect_b32 s4, 12, 18
	s_add_u32 s4, s8, s4
	s_addc_u32 s5, s9, 0
	global_load_ushort v9, v2, s[4:5]
	s_trap 2
	ds_read_b32 v2, v0
	v_pk_mov_b32 v[26:27], 0, 0
	v_cmp_eq_u32_e64 s[4:5], 0, v5
	s_waitcnt lgkmcnt(0)
	v_cmp_gt_i32_e32 vcc, 0, v2
	v_readfirstlane_b32 s8, v2
	s_cbranch_vccnz .LBB2_16
; %bb.15:
	s_trap 2
	ds_read_b64 v[12:13], v0
	v_mov_b32_e32 v3, 0
	v_lshlrev_b64 v[2:3], 3, v[2:3]
	v_and_b32_e32 v7, 0xffff, v6
	s_movk_i32 s6, 0xa8
	s_waitcnt lgkmcnt(0)
	v_add_co_u32_e32 v2, vcc, v12, v2
	v_addc_co_u32_e32 v3, vcc, v13, v3, vcc
	flat_load_dwordx2 v[2:3], v[2:3]
	s_mov_b32 s13, 1
	s_waitcnt vmcnt(0) lgkmcnt(0)
	v_mad_u64_u32 v[2:3], s[6:7], v7, s6, v[2:3]
	flat_load_dwordx2 a[18:19], v[2:3] offset:504
	flat_load_dwordx2 v[34:35], v[2:3] offset:608
	v_add_co_u32_e32 v2, vcc, 0x1f8, v2
	v_addc_co_u32_e32 v3, vcc, 0, v3, vcc
	v_cndmask_b32_e64 v29, 0, v3, s[4:5]
	v_cndmask_b32_e64 v28, 0, v2, s[4:5]
	s_branch .LBB2_17
.LBB2_16:
	v_pk_mov_b32 v[28:29], v[26:27], v[26:27] op_sel:[0,1]
                                        ; implicit-def: $vgpr34_vgpr35
                                        ; implicit-def: $agpr18_agpr19
.LBB2_17:
	s_trap 2
	ds_read_b32 v2, v0
	s_waitcnt lgkmcnt(0)
	v_cmp_gt_i32_e32 vcc, 0, v2
	s_cbranch_vccnz .LBB2_19
; %bb.18:
	s_trap 2
	ds_read_b64 v[12:13], v0
	v_mov_b32_e32 v3, 0
	v_lshlrev_b64 v[2:3], 3, v[2:3]
	v_and_b32_e32 v6, 0xffff, v6
	s_movk_i32 s4, 0xa8
	s_waitcnt lgkmcnt(0)
	v_add_co_u32_e32 v2, vcc, v12, v2
	v_addc_co_u32_e32 v3, vcc, v13, v3, vcc
	flat_load_dwordx2 v[2:3], v[2:3]
	v_cmp_eq_u32_e32 vcc, 0, v5
	s_waitcnt vmcnt(0) lgkmcnt(0)
	v_mad_u64_u32 v[2:3], s[4:5], v6, s4, v[2:3]
	flat_load_dwordx2 a[20:21], v[2:3]
	flat_load_dwordx2 v[16:17], v[2:3] offset:104
	v_cndmask_b32_e32 v27, 0, v3, vcc
	v_cndmask_b32_e32 v26, 0, v2, vcc
	s_branch .LBB2_20
.LBB2_19:
                                        ; implicit-def: $vgpr16_vgpr17
                                        ; implicit-def: $agpr20_agpr21
.LBB2_20:
	v_subrev_u32_e32 v2, 64, v20
	v_mov_b32_e32 v6, v0
	v_pk_mov_b32 v[12:13], 0, 0
	v_cmp_le_i32_e32 vcc, v2, v6
	v_cmp_gt_u32_e64 s[4:5], s13, v5
	v_accvgpr_write_b32 a25, v13
	s_and_b64 s[22:23], vcc, s[4:5]
	v_accvgpr_write_b32 a24, v12
                                        ; implicit-def: $agpr22_agpr23
	s_and_saveexec_b64 s[4:5], s[22:23]
	s_cbranch_execz .LBB2_22
; %bb.21:
	flat_load_dwordx2 a[24:25], v[28:29] offset:56
	flat_load_dwordx2 a[22:23], v[28:29] offset:104
.LBB2_22:
	s_or_b64 exec, exec, s[4:5]
	v_mov_b32_e32 v2, v0
	v_accvgpr_write_b32 a27, v13
	v_cmp_gt_i32_e64 s[4:5], s13, v2
	v_accvgpr_write_b32 a26, v12
                                        ; implicit-def: $vgpr52_vgpr53
	s_and_saveexec_b64 s[6:7], s[4:5]
	s_cbranch_execz .LBB2_24
; %bb.23:
	flat_load_dwordx2 v[2:3], v[26:27] offset:56
	s_waitcnt vmcnt(0) lgkmcnt(0)
	flat_load_dwordx2 v[52:53], v[2:3] glc
	s_waitcnt vmcnt(0)
	flat_load_dwordx4 v[12:15], v[26:27] offset:96
	v_accvgpr_write_b32 a27, v3
	v_accvgpr_write_b32 a26, v2
.LBB2_24:
	s_or_b64 exec, exec, s[6:7]
	v_cmp_ne_u64_e32 vcc, 0, v[24:25]
	v_pk_mov_b32 v[54:55], 0, 0
	s_and_saveexec_b64 s[24:25], vcc
	s_cbranch_execz .LBB2_1032
; %bb.25:
	v_add_co_u32_e32 v1, vcc, v18, v22
	s_ashr_i32 s6, s8, 31
	v_addc_co_u32_e32 v2, vcc, v19, v23, vcc
	s_lshr_b32 s6, s6, 29
	v_add_co_u32_e32 v1, vcc, v1, v8
	s_ashr_i32 s21, s20, 31
	s_add_i32 s8, s8, s6
	v_accvgpr_write_b32 a3, v1
	v_addc_co_u32_e32 v1, vcc, v2, v4, vcc
	s_lshl_b64 s[6:7], s[20:21], 2
	v_accvgpr_read_b32 v2, a6
	v_accvgpr_write_b32 a28, v1
	v_mov_b32_e32 v1, s7
	v_accvgpr_read_b32 v3, a7
	v_add_co_u32_e32 v2, vcc, s6, v2
	v_addc_co_u32_e32 v1, vcc, v3, v1, vcc
	v_add_co_u32_e32 v2, vcc, -4, v2
	v_addc_co_u32_e32 v3, vcc, -1, v1, vcc
	v_accvgpr_write_b32 a31, v3
	v_and_b32_e32 v1, 63, v31
	v_ashrrev_i32_e32 v21, 31, v20
	v_accvgpr_write_b32 a30, v2
	v_accvgpr_read_b32 v2, a26
	v_cmp_eq_u32_e64 s[12:13], 0, v1
	v_lshrrev_b32_e32 v1, 26, v21
	v_accvgpr_read_b32 v3, a27
	v_add_u32_e32 v1, v20, v1
	v_cmp_ne_u64_e64 s[6:7], 0, v[2:3]
	v_ashrrev_i32_e32 v2, 6, v1
	v_accvgpr_write_b32 a32, v2
	v_ashrrev_i32_e32 v1, 31, v2
	v_accvgpr_read_b32 v2, a10
	v_lshlrev_b32_e32 v6, 3, v0
	v_accvgpr_read_b32 v4, a12
	v_accvgpr_write_b32 a29, v1
	v_ashrrev_i32_e32 v1, 31, v6
	v_accvgpr_read_b32 v5, a13
	v_add_co_u32_e32 v7, vcc, v4, v6
	v_addc_co_u32_e32 v8, vcc, v5, v1, vcc
	v_accvgpr_read_b32 v3, a11
	v_add_co_u32_e32 v2, vcc, v2, v6
	v_accvgpr_write_b32 a37, v2
	v_accvgpr_write_b32 a33, v1
	v_addc_co_u32_e32 v1, vcc, v3, v1, vcc
	v_accvgpr_read_b32 v2, a8
	v_accvgpr_read_b32 v3, a9
	v_add_co_u32_e32 v2, vcc, v7, v2
	v_addc_co_u32_e32 v3, vcc, v8, v3, vcc
	v_accvgpr_write_b32 a38, v1
	v_accvgpr_write_b32 a41, v3
	v_ashrrev_i32_e32 v1, 31, v0
	s_ashr_i32 s10, s8, 3
	v_accvgpr_write_b32 a40, v2
	v_accvgpr_write_b32 a2, v0
	v_lshlrev_b64 v[0:1], 4, v[0:1]
	s_waitcnt vmcnt(0) lgkmcnt(0)
	v_accvgpr_read_b32 v2, a20
	s_ashr_i32 s58, s8, 7
	s_and_b32 s21, s10, -16
	v_accvgpr_read_b32 v4, a24
	v_accvgpr_read_b32 v3, a21
	v_add_co_u32_e32 v0, vcc, v2, v0
	v_accvgpr_write_b32 a16, v28
	v_accvgpr_write_b32 a14, v26
	v_mov_b32_e32 v43, 0
	v_accvgpr_write_b32 a1, v9
	v_cmp_ne_u32_sdwa s[28:29], v9, v20 src0_sel:WORD_0 src1_sel:DWORD
	v_lshlrev_b32_e32 v56, 3, v20
	s_cmp_gt_i32 s20, 2
	v_accvgpr_read_b32 v5, a25
	v_accvgpr_write_b32 a36, v8
	v_lshlrev_b32_e32 v38, 6, v20
	v_accvgpr_write_b32 a42, v0
	v_addc_co_u32_e32 v0, vcc, v3, v1, vcc
	v_pk_mov_b32 v[8:9], 0, 0
	v_accvgpr_write_b32 a17, v29
	v_accvgpr_write_b32 a15, v27
	v_and_b32_e32 v10, 0x1fffff0, v10
	v_mov_b32_e32 v11, v43
	s_mov_b64 s[26:27], 0
	v_cmp_ne_u64_e64 s[8:9], 0, v[12:13]
	v_cmp_ne_u32_e64 s[10:11], 64, v20
	v_accvgpr_write_b32 a0, v31
	s_cselect_b64 s[30:31], -1, 0
	v_cmp_ne_u64_e64 s[14:15], 0, v[4:5]
	v_accvgpr_write_b32 a34, v6
	v_accvgpr_write_b32 a35, v7
	;; [unrolled: 1-line block ×3, first 2 shown]
	s_movk_i32 s59, 0x2710
	s_mov_b64 s[34:35], 0x7ffffff8
	s_movk_i32 s60, 0xff
	s_movk_i32 s61, 0x80
	;; [unrolled: 1-line block ×3, first 2 shown]
	s_mov_b64 s[36:37], 0x7f800000
	s_mov_b64 s[38:39], 0x43e00001
	s_movk_i32 s63, 0x7a
	s_mov_b64 s[40:41], 0xffffff
	s_mov_b32 s64, 0xffffff
	s_mov_b32 s65, 0xc0c0500
	;; [unrolled: 1-line block ×6, first 2 shown]
	v_bfrev_b32_e32 v47, 60
	v_mov_b32_e32 v30, 0xffffff82
	v_mov_b32_e32 v6, 0x78
	;; [unrolled: 1-line block ×4, first 2 shown]
	v_ashrrev_i32_e32 v45, 31, v56
	v_lshlrev_b64 v[58:59], 4, v[20:21]
	v_pk_mov_b32 v[54:55], v[8:9], v[8:9] op_sel:[0,1]
	v_accvgpr_write_b32 a39, v38
	s_branch .LBB2_27
.LBB2_26:                               ;   in Loop: Header=BB2_27 Depth=1
	s_or_b64 exec, exec, s[16:17]
	v_add_co_u32_e32 v34, vcc, 1, v34
	v_addc_co_u32_e32 v35, vcc, 0, v35, vcc
	v_add_co_u32_e32 v8, vcc, v8, v2
	v_accvgpr_read_b32 v25, a5
	v_addc_co_u32_e32 v9, vcc, 0, v9, vcc
	v_accvgpr_read_b32 v24, a4
	v_cmp_ge_u64_e32 vcc, v[8:9], v[24:25]
	v_accvgpr_read_b32 v0, a40
	s_or_b64 s[26:27], vcc, s[26:27]
	v_accvgpr_read_b32 v1, a41
	v_add_co_u32_e32 v0, vcc, v0, v2
	v_addc_co_u32_e32 v1, vcc, 0, v1, vcc
	v_accvgpr_write_b32 a41, v1
	v_accvgpr_write_b32 a40, v0
	v_pk_mov_b32 v[10:11], v[2:3], v[2:3] op_sel:[0,1]
	s_andn2_b64 exec, exec, s[26:27]
	s_cbranch_execz .LBB2_1031
.LBB2_27:                               ; =>This Loop Header: Depth=1
                                        ;     Child Loop BB2_34 Depth 2
                                        ;     Child Loop BB2_51 Depth 2
	;; [unrolled: 1-line block ×5, first 2 shown]
                                        ;       Child Loop BB2_235 Depth 3
                                        ;       Child Loop BB2_251 Depth 3
	;; [unrolled: 1-line block ×3, first 2 shown]
                                        ;         Child Loop BB2_272 Depth 4
                                        ;       Child Loop BB2_624 Depth 3
                                        ;       Child Loop BB2_228 Depth 3
                                        ;     Child Loop BB2_639 Depth 2
                                        ;       Child Loop BB2_647 Depth 3
                                        ;     Child Loop BB2_1019 Depth 2
	v_accvgpr_read_b32 v0, a30
	v_accvgpr_read_b32 v1, a31
	flat_load_dword v2, v[0:1]
	v_sub_co_u32_e32 v0, vcc, v24, v8
	v_subb_co_u32_e32 v1, vcc, v25, v9, vcc
	v_cmp_lt_u64_e32 vcc, v[10:11], v[0:1]
	v_cndmask_b32_e32 v3, v0, v10, vcc
	v_lshl_add_u32 v0, v3, 1, 14
	v_accvgpr_write_b32 a4, v24
	v_accvgpr_write_b32 a10, v10
	v_and_b32_e32 v0, 0x7fffff0, v0
	v_accvgpr_write_b32 a5, v25
	v_accvgpr_write_b32 a11, v11
	;; [unrolled: 1-line block ×3, first 2 shown]
	s_mov_b64 s[16:17], exec
	v_accvgpr_write_b32 a45, v9
	s_and_b64 s[18:19], s[16:17], s[6:7]
	v_accvgpr_write_b32 a44, v8
	s_mov_b64 exec, s[18:19]
	s_cbranch_execz .LBB2_43
; %bb.28:                               ;   in Loop: Header=BB2_27 Depth=1
	v_add_co_u32_e32 v0, vcc, 1, v14
	v_addc_co_u32_e32 v1, vcc, 0, v15, vcc
	v_add_co_u32_e32 v4, vcc, 8, v52
	v_addc_co_u32_e32 v5, vcc, 0, v53, vcc
	v_cmp_lt_u64_e32 vcc, v[4:5], v[0:1]
	s_and_saveexec_b64 s[18:19], vcc
	s_cbranch_execz .LBB2_40
; %bb.29:                               ;   in Loop: Header=BB2_27 Depth=1
	v_accvgpr_read_b32 v4, a26
	v_accvgpr_read_b32 v5, a27
	s_sleep 1
	flat_load_dwordx2 v[52:53], v[4:5] glc
	v_cmp_eq_u32_e32 vcc, 0, v40
	s_and_saveexec_b64 s[42:43], vcc
	s_cbranch_execz .LBB2_39
; %bb.30:                               ;   in Loop: Header=BB2_27 Depth=1
	v_cndmask_b32_e64 v4, 0, 1, vcc
	s_mov_b64 s[44:45], 0
                                        ; implicit-def: $sgpr46_sgpr47
	s_branch .LBB2_34
.LBB2_31:                               ;   in Loop: Header=BB2_34 Depth=2
	s_or_b64 exec, exec, s[54:55]
	s_orn2_b64 s[52:53], s[52:53], exec
.LBB2_32:                               ;   in Loop: Header=BB2_34 Depth=2
	s_or_b64 exec, exec, s[50:51]
	s_xor_b64 vcc, s[52:53], -1
	s_andn2_b64 s[46:47], s[46:47], exec
	s_and_b64 vcc, vcc, exec
	s_or_b64 s[46:47], s[46:47], vcc
.LBB2_33:                               ;   in Loop: Header=BB2_34 Depth=2
	s_or_b64 exec, exec, s[48:49]
	s_and_b64 vcc, exec, s[46:47]
	s_or_b64 s[44:45], vcc, s[44:45]
	s_andn2_b64 exec, exec, s[44:45]
	s_cbranch_execz .LBB2_38
.LBB2_34:                               ;   Parent Loop BB2_27 Depth=1
                                        ; =>  This Inner Loop Header: Depth=2
	s_waitcnt vmcnt(0) lgkmcnt(0)
	v_add_co_u32_e32 v8, vcc, 8, v52
	v_addc_co_u32_e32 v9, vcc, 0, v53, vcc
	v_cmp_lt_u64_e32 vcc, v[8:9], v[0:1]
	v_mov_b32_e32 v40, 0
	s_or_b64 s[46:47], s[46:47], exec
	s_and_saveexec_b64 s[48:49], vcc
	s_cbranch_execz .LBB2_33
; %bb.35:                               ;   in Loop: Header=BB2_34 Depth=2
	v_accvgpr_read_b32 v8, a26
	v_accvgpr_read_b32 v9, a27
	s_sleep 1
	flat_load_dwordx2 v[52:53], v[8:9] glc
	v_add_u32_e32 v4, 1, v4
	v_cmp_eq_u32_e32 vcc, s59, v4
	s_mov_b64 s[52:53], -1
	v_mov_b32_e32 v40, 0
	s_and_saveexec_b64 s[50:51], vcc
	s_cbranch_execz .LBB2_32
; %bb.36:                               ;   in Loop: Header=BB2_34 Depth=2
	s_trap 2
	ds_read_b64 v[4:5], v0
	v_mov_b32_e32 v40, 0
	s_waitcnt vmcnt(0) lgkmcnt(0)
	flat_load_dword v5, v[4:5] glc
	s_waitcnt vmcnt(0) lgkmcnt(0)
	buffer_invl2
	buffer_wbinvl1_vol
	v_mov_b32_e32 v4, 0
	v_cmp_ne_u32_e32 vcc, 0, v5
	s_and_saveexec_b64 s[54:55], vcc
	s_cbranch_execz .LBB2_31
; %bb.37:                               ;   in Loop: Header=BB2_34 Depth=2
	v_mov_b32_e32 v40, 1
	s_xor_b64 s[52:53], exec, -1
	ds_write_b32 v0, v5
	s_trap 2
	s_branch .LBB2_31
.LBB2_38:                               ;   in Loop: Header=BB2_27 Depth=1
	s_or_b64 exec, exec, s[44:45]
	v_accvgpr_read_b32 v8, a44
	v_accvgpr_read_b32 v9, a45
.LBB2_39:                               ;   in Loop: Header=BB2_27 Depth=1
	s_or_b64 exec, exec, s[42:43]
.LBB2_40:                               ;   in Loop: Header=BB2_27 Depth=1
	s_or_b64 exec, exec, s[18:19]
	s_and_saveexec_b64 s[18:19], s[8:9]
	s_cbranch_execz .LBB2_42
; %bb.41:                               ;   in Loop: Header=BB2_27 Depth=1
	v_and_b32_e32 v42, 0x7ffffff8, v14
	v_mov_b32_e32 v4, s21
	v_cmp_eq_u64_e32 vcc, s[34:35], v[42:43]
	v_accvgpr_read_b32 v5, a46
	v_cndmask_b32_e32 v4, v5, v4, vcc
	v_and_b32_e32 v8, 7, v14
	v_ashrrev_i32_e32 v5, 31, v4
	v_mad_u64_u32 v[8:9], vcc, v8, 24, v[12:13]
	flat_store_dwordx2 v[8:9], v[4:5] offset:8
	s_waitcnt vmcnt(0)
	v_accvgpr_read_b32 v8, a44
	v_accvgpr_read_b32 v9, a45
.LBB2_42:                               ;   in Loop: Header=BB2_27 Depth=1
	s_or_b64 exec, exec, s[18:19]
	v_pk_mov_b32 v[14:15], v[0:1], v[0:1] op_sel:[0,1]
.LBB2_43:                               ;   in Loop: Header=BB2_27 Depth=1
	s_or_b64 exec, exec, s[16:17]
	s_and_saveexec_b64 s[16:17], s[10:11]
	s_cbranch_execz .LBB2_62
; %bb.44:                               ;   in Loop: Header=BB2_27 Depth=1
	s_and_saveexec_b64 s[18:19], s[28:29]
	s_xor_b64 s[18:19], exec, s[18:19]
	s_cbranch_execz .LBB2_59
; %bb.45:                               ;   in Loop: Header=BB2_27 Depth=1
	s_and_saveexec_b64 s[42:43], s[12:13]
	s_cbranch_execz .LBB2_58
; %bb.46:                               ;   in Loop: Header=BB2_27 Depth=1
	s_mov_b64 s[46:47], exec
	v_mbcnt_lo_u32_b32 v0, s46, 0
	v_mbcnt_hi_u32_b32 v0, s47, v0
	v_cmp_eq_u32_e32 vcc, 0, v0
	s_waitcnt vmcnt(0) lgkmcnt(0)
	buffer_wbinvl1_vol
	s_and_saveexec_b64 s[44:45], vcc
	s_cbranch_execz .LBB2_48
; %bb.47:                               ;   in Loop: Header=BB2_27 Depth=1
	s_bcnt1_i32_b64 vcc_lo, s[46:47]
	v_mov_b32_e32 v42, vcc_lo
	ds_add_u64 v0, v[42:43]
	s_trap 2
.LBB2_48:                               ;   in Loop: Header=BB2_27 Depth=1
	s_or_b64 exec, exec, s[44:45]
	s_trap 2
	ds_read_b64 v[0:1], v0
	v_accvgpr_read_b32 v4, a32
	v_add_co_u32_e32 v54, vcc, v54, v4
	v_accvgpr_read_b32 v5, a29
	v_addc_co_u32_e32 v55, vcc, v55, v5, vcc
	s_waitcnt lgkmcnt(0)
	v_cmp_lt_u64_e32 vcc, v[0:1], v[54:55]
	s_and_saveexec_b64 s[44:45], vcc
	s_cbranch_execz .LBB2_57
; %bb.49:                               ;   in Loop: Header=BB2_27 Depth=1
	s_mov_b32 s56, 0
	s_mov_b64 s[46:47], 0
                                        ; implicit-def: $sgpr48_sgpr49
                                        ; implicit-def: $sgpr50_sgpr51
	s_branch .LBB2_51
.LBB2_50:                               ;   in Loop: Header=BB2_51 Depth=2
	s_or_b64 exec, exec, s[54:55]
	s_and_b64 vcc, exec, vcc
	s_or_b64 s[46:47], vcc, s[46:47]
	s_andn2_b64 vcc, s[48:49], exec
	s_and_b64 s[48:49], s[50:51], exec
	s_or_b64 s[48:49], vcc, s[48:49]
	s_andn2_b64 exec, exec, s[46:47]
	s_cbranch_execz .LBB2_55
.LBB2_51:                               ;   Parent Loop BB2_27 Depth=1
                                        ; =>  This Inner Loop Header: Depth=2
	s_add_i32 s56, s56, 1
	s_cmpk_lg_i32 s56, 0x2710
	s_cselect_b64 s[52:53], -1, 0
	s_and_b64 vcc, exec, s[52:53]
                                        ; implicit-def: $sgpr54_sgpr55
	s_cbranch_vccnz .LBB2_53
; %bb.52:                               ;   in Loop: Header=BB2_51 Depth=2
	s_trap 2
	ds_read_b64 v[0:1], v0
	s_andn2_b64 s[52:53], s[52:53], exec
	s_mov_b32 s56, 0
	s_mov_b64 s[54:55], -1
	s_waitcnt lgkmcnt(0)
	flat_load_dword v0, v[0:1] glc
	s_waitcnt vmcnt(0) lgkmcnt(0)
	buffer_invl2
	buffer_wbinvl1_vol
	v_cmp_eq_u32_e32 vcc, 0, v0
	s_and_b64 vcc, vcc, exec
	s_or_b64 s[52:53], s[52:53], vcc
.LBB2_53:                               ;   in Loop: Header=BB2_51 Depth=2
	s_andn2_b64 s[50:51], s[50:51], exec
	s_and_b64 s[54:55], s[54:55], exec
	s_mov_b64 vcc, -1
	s_or_b64 s[50:51], s[50:51], s[54:55]
	s_and_saveexec_b64 s[54:55], s[52:53]
	s_cbranch_execz .LBB2_50
; %bb.54:                               ;   in Loop: Header=BB2_51 Depth=2
	s_sleep 1
	s_trap 2
	ds_read_b64 v[0:1], v0
	s_andn2_b64 s[50:51], s[50:51], exec
	s_waitcnt lgkmcnt(0)
	v_cmp_ge_u64_e32 vcc, v[0:1], v[54:55]
	s_orn2_b64 vcc, vcc, exec
	s_branch .LBB2_50
.LBB2_55:                               ;   in Loop: Header=BB2_27 Depth=1
	s_or_b64 exec, exec, s[46:47]
	s_and_saveexec_b64 vcc, s[48:49]
	s_xor_b64 vcc, exec, vcc
	s_cbranch_execz .LBB2_57
; %bb.56:                               ;   in Loop: Header=BB2_27 Depth=1
	v_mov_b32_e32 v0, 1
	ds_write_b32 v0, v0
	s_trap 2
.LBB2_57:                               ;   in Loop: Header=BB2_27 Depth=1
	s_or_b64 exec, exec, s[44:45]
	;;#ASMSTART
	s_wakeup
	;;#ASMEND
.LBB2_58:                               ;   in Loop: Header=BB2_27 Depth=1
	s_or_b64 exec, exec, s[42:43]
.LBB2_59:                               ;   in Loop: Header=BB2_27 Depth=1
	s_andn2_saveexec_b64 s[18:19], s[18:19]
	s_cbranch_execz .LBB2_61
; %bb.60:                               ;   in Loop: Header=BB2_27 Depth=1
	s_waitcnt vmcnt(0) lgkmcnt(0)
	buffer_wbinvl1_vol
	s_barrier
.LBB2_61:                               ;   in Loop: Header=BB2_27 Depth=1
	s_or_b64 exec, exec, s[18:19]
.LBB2_62:                               ;   in Loop: Header=BB2_27 Depth=1
	s_or_b64 exec, exec, s[16:17]
	v_accvgpr_read_b32 v0, a34
	v_sub_u32_e32 v32, v3, v0
	v_cmp_lt_i32_e64 s[16:17], 0, v32
	v_and_b32_e32 v1, 7, v16
	v_accvgpr_read_b32 v0, a2
	s_and_saveexec_b64 s[42:43], s[16:17]
	s_cbranch_execz .LBB2_214
; %bb.63:                               ;   in Loop: Header=BB2_27 Depth=1
	v_accvgpr_read_b32 v22, a40
	s_waitcnt vmcnt(0) lgkmcnt(0)
	v_ashrrev_i32_e32 v0, 31, v2
	v_accvgpr_read_b32 v18, a3
	v_accvgpr_read_b32 v23, a41
	;; [unrolled: 1-line block ×3, first 2 shown]
	v_mul_lo_u32 v4, v1, s58
	v_mad_u64_u32 v[10:11], s[18:19], v18, v2, v[22:23]
	v_mul_lo_u32 v9, v9, v2
	v_mul_lo_u32 v0, v18, v0
	v_ashrrev_i32_e32 v5, 31, v4
	v_mov_b32_e32 v3, v16
	v_add_co_u32_e64 v8, vcc, 0, 0
	v_add3_u32 v11, v9, v11, v0
	v_mul_lo_u32 v0, v18, v2
	v_addc_co_u32_e32 v3, vcc, 1, v3, vcc
	v_add_lshl_u32 v9, v22, v0, 3
	v_lshlrev_b64 v[4:5], 4, v[4:5]
	v_accvgpr_read_b32 v0, a42
	v_add_co_u32_e32 v18, vcc, v0, v4
	v_accvgpr_read_b32 v0, a43
	v_addc_co_u32_e32 v19, vcc, v0, v5, vcc
	s_mov_b64 s[44:45], 0
	v_mov_b32_e32 v21, v32
	v_accvgpr_read_b32 v0, a2
	s_branch .LBB2_65
.LBB2_64:                               ;   in Loop: Header=BB2_65 Depth=2
	s_or_b64 exec, exec, s[18:19]
	v_and_b32_e32 v2, 0xff, v26
	v_lshlrev_b32_e32 v2, 16, v2
	v_lshlrev_b32_e32 v5, 8, v25
	v_perm_b32 v22, v29, v28, s66
	v_add_co_u32_e32 v10, vcc, v10, v56
	v_lshl_or_b32 v2, v27, 24, v2
	v_perm_b32 v5, v5, v24, s65
	v_lshlrev_b32_e32 v4, 24, v4
	v_lshl_or_b32 v22, v31, 16, v22
	v_sub_u32_e32 v21, v21, v56
	v_addc_co_u32_e32 v11, vcc, v11, v45, vcc
	v_or3_b32 v2, v2, v5, v8
	v_or3_b32 v4, v22, v4, v8
	v_mov_b32_e32 v5, v3
	v_cmp_gt_i32_e32 vcc, 1, v21
	global_store_dwordx4 v[18:19], v[2:5], off
	s_or_b64 s[44:45], vcc, s[44:45]
	v_add_co_u32_e32 v18, vcc, v18, v58
	v_add_u32_e32 v0, v0, v20
	v_add_u32_e32 v9, v9, v38
	v_addc_co_u32_e32 v19, vcc, v19, v59, vcc
	s_andn2_b64 exec, exec, s[44:45]
	s_cbranch_execz .LBB2_213
.LBB2_65:                               ;   Parent Loop BB2_27 Depth=1
                                        ; =>  This Inner Loop Header: Depth=2
	v_and_b32_e32 v4, -4, v10
	v_mov_b32_e32 v5, v11
	global_load_dword v26, v[4:5], off glc slc
	v_min_u32_e32 v22, 8, v21
	v_and_b32_e32 v23, 3, v10
	v_add_co_u32_e32 v24, vcc, v23, v22
	v_addc_co_u32_e64 v25, s[18:19], 0, 0, vcc
	v_mov_b32_e32 v2, 0
	v_cmp_lt_u64_e32 vcc, 4, v[24:25]
	v_mov_b32_e32 v28, 0
	s_and_saveexec_b64 s[18:19], vcc
	s_cbranch_execz .LBB2_67
; %bb.66:                               ;   in Loop: Header=BB2_65 Depth=2
	global_load_dword v28, v[4:5], off offset:4 glc slc
.LBB2_67:                               ;   in Loop: Header=BB2_65 Depth=2
	s_or_b64 exec, exec, s[18:19]
	v_cmp_lt_u64_e32 vcc, 8, v[24:25]
	v_mov_b32_e32 v29, 0
	s_and_saveexec_b64 s[18:19], vcc
	s_cbranch_execz .LBB2_69
; %bb.68:                               ;   in Loop: Header=BB2_65 Depth=2
	global_load_dword v29, v[4:5], off offset:8 glc slc
.LBB2_69:                               ;   in Loop: Header=BB2_65 Depth=2
	s_or_b64 exec, exec, s[18:19]
	s_waitcnt vmcnt(0)
	v_alignbit_b32 v42, v28, v26, v9
	v_cmp_ne_u16_sdwa vcc, v42, v43 src0_sel:BYTE_0 src1_sel:DWORD
	s_and_saveexec_b64 s[18:19], vcc
	s_cbranch_execz .LBB2_75
; %bb.70:                               ;   in Loop: Header=BB2_65 Depth=2
	v_cmp_ne_u16_sdwa vcc, v42, s61 src0_sel:BYTE_0 src1_sel:DWORD
	v_bfrev_b32_e32 v2, 1
	s_and_saveexec_b64 s[46:47], vcc
	s_cbranch_execz .LBB2_74
; %bb.71:                               ;   in Loop: Header=BB2_65 Depth=2
	v_and_b32_e32 v4, 0x7f, v42
	v_cmp_ne_u32_e32 vcc, s62, v4
	v_mov_b32_e32 v2, 0x7f800001
	s_and_saveexec_b64 s[48:49], vcc
	s_cbranch_execz .LBB2_73
; %bb.72:                               ;   in Loop: Header=BB2_65 Depth=2
	v_and_b32_e32 v2, 7, v42
	v_ffbh_u32_e32 v2, v2
	v_min_u32_e32 v2, 32, v2
	v_subrev_u32_e32 v22, 28, v2
	v_cmp_gt_u32_e32 vcc, 8, v4
	v_lshrrev_b32_e32 v5, 3, v4
	v_sub_u32_e32 v2, 29, v2
	v_cndmask_b32_e32 v4, 0, v22, vcc
	v_cndmask_b32_e32 v2, v5, v2, vcc
	v_lshlrev_b64 v[4:5], v4, v[42:43]
	v_lshlrev_b32_e32 v4, 20, v4
	v_lshlrev_b32_e32 v5, 24, v42
	v_and_b32_e32 v4, 0x700000, v4
	v_and_b32_e32 v5, 0x80000000, v5
	v_lshl_add_u32 v2, v2, 23, v47
	v_or3_b32 v2, v5, v2, v4
.LBB2_73:                               ;   in Loop: Header=BB2_65 Depth=2
	s_or_b64 exec, exec, s[48:49]
.LBB2_74:                               ;   in Loop: Header=BB2_65 Depth=2
	s_or_b64 exec, exec, s[46:47]
.LBB2_75:                               ;   in Loop: Header=BB2_65 Depth=2
	s_or_b64 exec, exec, s[18:19]
	v_mul_f32_e32 v25, v62, v2
	v_and_b32_sdwa v2, v25, s61 dst_sel:DWORD dst_unused:UNUSED_PAD src0_sel:BYTE_3 src1_sel:DWORD
	v_and_b32_e32 v22, 0x7f800000, v25
	v_mov_b32_e32 v23, v43
	v_and_b32_e32 v4, 0x7fffff, v25
	v_mov_b32_e32 v5, v43
	v_or_b32_e32 v24, 0x7e, v2
	v_cmp_ne_u64_e32 vcc, s[36:37], v[22:23]
	s_and_saveexec_b64 s[18:19], vcc
	s_xor_b64 s[46:47], exec, s[18:19]
	s_cbranch_execz .LBB2_85
; %bb.76:                               ;   in Loop: Header=BB2_65 Depth=2
	v_and_b32_e32 v22, 0x7fffffff, v25
	v_mov_b32_e32 v23, v43
	v_cmp_gt_u64_e32 vcc, s[38:39], v[22:23]
	s_and_saveexec_b64 s[48:49], vcc
	s_cbranch_execz .LBB2_84
; %bb.77:                               ;   in Loop: Header=BB2_65 Depth=2
	v_cmp_ne_u32_e32 vcc, 0, v25
	v_mov_b32_e32 v24, 0
	s_and_saveexec_b64 s[50:51], vcc
	s_cbranch_execz .LBB2_83
; %bb.78:                               ;   in Loop: Header=BB2_65 Depth=2
	v_bfe_u32 v22, v25, 23, 8
	v_cmp_eq_u32_e32 vcc, 0, v22
	v_add_u32_e32 v23, 0xffffff81, v22
	v_cmp_gt_u32_e64 s[18:19], s63, v22
	v_sub_u32_e32 v22, 0x79, v22
	v_cndmask_b32_e64 v22, 0, v22, s[18:19]
	v_cndmask_b32_e32 v27, v22, v6, vcc
	v_add_u32_e32 v22, 20, v27
	v_or_b32_e32 v24, 0x800000, v4
	v_cndmask_b32_e32 v26, v23, v30, vcc
	v_lshlrev_b64 v[22:23], v22, -1
	v_cndmask_b32_e32 v4, v24, v4, vcc
	v_not_b32_e32 v23, v23
	v_not_b32_e32 v22, v22
	v_add_u32_e32 v24, 19, v27
	v_and_b32_e32 v23, 0, v23
	v_and_b32_e32 v22, v4, v22
	v_lshlrev_b64 v[24:25], v24, 1
	v_lshrrev_b64 v[4:5], v27, v[4:5]
	v_cmp_eq_u64_e32 vcc, v[22:23], v[24:25]
	v_lshrrev_b32_e32 v22, 23, v4
	v_add3_u32 v26, v27, v26, v22
	v_bfe_u32 v22, v4, 20, 1
	v_add_u32_e32 v22, -1, v22
	v_cndmask_b32_e32 v22, 0, v22, vcc
	v_add_u32_e32 v22, v22, v4
	v_and_b32_e32 v22, 0xfffff, v22
	v_add_co_u32_e32 v4, vcc, v22, v4
	v_add_u32_e32 v25, 6, v26
	v_addc_co_u32_e32 v5, vcc, 0, v5, vcc
	v_cmp_ne_u32_e32 vcc, 0, v25
                                        ; implicit-def: $vgpr24
	s_and_saveexec_b64 s[18:19], vcc
	s_xor_b64 s[18:19], exec, s[18:19]
; %bb.79:                               ;   in Loop: Header=BB2_65 Depth=2
	v_add_u32_e32 v22, 7, v26
	v_cmp_lt_u64_e32 vcc, s[40:41], v[4:5]
	v_cndmask_b32_e32 v24, v25, v22, vcc
	v_cndmask_b32_e64 v22, 0, 1, vcc
	v_lshrrev_b64 v[4:5], v22, v[4:5]
; %bb.80:                               ;   in Loop: Header=BB2_65 Depth=2
	s_andn2_saveexec_b64 s[18:19], s[18:19]
; %bb.81:                               ;   in Loop: Header=BB2_65 Depth=2
	v_bfe_u32 v24, v4, 23, 1
; %bb.82:                               ;   in Loop: Header=BB2_65 Depth=2
	s_or_b64 exec, exec, s[18:19]
	v_lshrrev_b64 v[4:5], 20, v[4:5]
	v_cmp_gt_i32_e32 vcc, 16, v24
	v_cndmask_b32_e32 v5, 0, v5, vcc
	v_cndmask_b32_e32 v4, 7, v4, vcc
	v_cmp_eq_u64_e64 s[18:19], 0, v[4:5]
	v_min_i32_e32 v5, 15, v24
	v_cmp_eq_u32_e32 vcc, 0, v24
	v_lshlrev_b32_e32 v5, 3, v5
	v_and_or_b32 v4, v4, 7, v5
	s_and_b64 s[18:19], vcc, s[18:19]
	v_cndmask_b32_e64 v4, v4, 0, s[18:19]
	v_or_b32_e32 v24, v4, v2
.LBB2_83:                               ;   in Loop: Header=BB2_65 Depth=2
	s_or_b64 exec, exec, s[50:51]
.LBB2_84:                               ;   in Loop: Header=BB2_65 Depth=2
	s_or_b64 exec, exec, s[48:49]
                                        ; implicit-def: $vgpr25
                                        ; implicit-def: $vgpr4_vgpr5
.LBB2_85:                               ;   in Loop: Header=BB2_65 Depth=2
	s_andn2_saveexec_b64 s[18:19], s[46:47]
; %bb.86:                               ;   in Loop: Header=BB2_65 Depth=2
	v_or_b32_sdwa v2, v25, s62 dst_sel:DWORD dst_unused:UNUSED_PAD src0_sel:BYTE_3 src1_sel:DWORD
	v_cmp_eq_u64_e32 vcc, 0, v[4:5]
	v_cndmask_b32_e32 v24, v2, v24, vcc
; %bb.87:                               ;   in Loop: Header=BB2_65 Depth=2
	s_or_b64 exec, exec, s[18:19]
	v_lshrrev_b16_e32 v2, 8, v42
	v_cmp_ne_u16_e32 vcc, 0, v2
	v_mov_b32_e32 v4, 0
	s_and_saveexec_b64 s[18:19], vcc
	s_cbranch_execz .LBB2_93
; %bb.88:                               ;   in Loop: Header=BB2_65 Depth=2
	v_cmp_ne_u16_e32 vcc, s61, v2
	v_bfrev_b32_e32 v4, 1
	s_and_saveexec_b64 s[46:47], vcc
	s_cbranch_execz .LBB2_92
; %bb.89:                               ;   in Loop: Header=BB2_65 Depth=2
	v_and_b32_e32 v5, 0x7f, v2
	v_cmp_ne_u32_e32 vcc, s62, v5
	v_mov_b32_e32 v4, 0x7f800001
	s_and_saveexec_b64 s[48:49], vcc
	s_cbranch_execz .LBB2_91
; %bb.90:                               ;   in Loop: Header=BB2_65 Depth=2
	v_and_b32_e32 v4, 7, v2
	v_ffbh_u32_e32 v22, v4
	v_min_u32_e32 v26, 32, v22
	v_subrev_u32_e32 v22, 28, v26
	v_lshlrev_b64 v[22:23], v22, v[2:3]
	v_lshrrev_b32_e32 v25, 3, v5
	v_sub_u32_e32 v2, 29, v26
	v_and_b32_e32 v22, 7, v22
	v_cmp_gt_u32_e32 vcc, 8, v5
	v_cndmask_b32_e32 v2, v25, v2, vcc
	v_cndmask_b32_e32 v4, v4, v22, vcc
	v_lshlrev_b32_e32 v5, 16, v42
	v_lshlrev_b32_e32 v4, 20, v4
	v_and_b32_e32 v5, 0x80000000, v5
	v_lshl_add_u32 v2, v2, 23, v47
	v_or3_b32 v4, v5, v2, v4
.LBB2_91:                               ;   in Loop: Header=BB2_65 Depth=2
	s_or_b64 exec, exec, s[48:49]
.LBB2_92:                               ;   in Loop: Header=BB2_65 Depth=2
	s_or_b64 exec, exec, s[46:47]
.LBB2_93:                               ;   in Loop: Header=BB2_65 Depth=2
	s_or_b64 exec, exec, s[18:19]
	v_mul_f32_e32 v26, v62, v4
	v_and_b32_sdwa v2, v26, s61 dst_sel:DWORD dst_unused:UNUSED_PAD src0_sel:BYTE_3 src1_sel:DWORD
	v_and_b32_e32 v22, 0x7f800000, v26
	v_mov_b32_e32 v23, v43
	v_and_b32_e32 v4, 0x7fffff, v26
	v_mov_b32_e32 v5, v43
	v_or_b32_e32 v25, 0x7e, v2
	v_cmp_ne_u64_e32 vcc, s[36:37], v[22:23]
	s_and_saveexec_b64 s[18:19], vcc
	s_xor_b64 s[46:47], exec, s[18:19]
	s_cbranch_execz .LBB2_103
; %bb.94:                               ;   in Loop: Header=BB2_65 Depth=2
	v_and_b32_e32 v22, 0x7fffffff, v26
	v_mov_b32_e32 v23, v43
	v_cmp_gt_u64_e32 vcc, s[38:39], v[22:23]
	s_and_saveexec_b64 s[48:49], vcc
	s_cbranch_execz .LBB2_102
; %bb.95:                               ;   in Loop: Header=BB2_65 Depth=2
	v_cmp_ne_u32_e32 vcc, 0, v26
	v_mov_b32_e32 v25, 0
	s_and_saveexec_b64 s[50:51], vcc
	s_cbranch_execz .LBB2_101
; %bb.96:                               ;   in Loop: Header=BB2_65 Depth=2
	v_bfe_u32 v22, v26, 23, 8
	v_sub_u32_e32 v25, 0x79, v22
	v_cmp_gt_u32_e32 vcc, s63, v22
	v_cndmask_b32_e32 v25, 0, v25, vcc
	v_cmp_eq_u32_e32 vcc, 0, v22
	v_cndmask_b32_e32 v25, v25, v6, vcc
	v_add_u32_e32 v23, 0xffffff81, v22
	v_add_u32_e32 v22, 20, v25
	v_or_b32_e32 v26, 0x800000, v4
	v_cndmask_b32_e32 v27, v23, v30, vcc
	v_lshlrev_b64 v[22:23], v22, -1
	v_cndmask_b32_e32 v4, v26, v4, vcc
	v_not_b32_e32 v22, v22
	v_and_b32_e32 v22, v4, v22
	v_add_u32_e32 v26, 19, v25
	v_lshrrev_b64 v[4:5], v25, v[4:5]
	v_not_b32_e32 v23, v23
	v_lshlrev_b64 v[48:49], v26, 1
	v_lshrrev_b32_e32 v26, 23, v4
	v_and_b32_e32 v23, 0, v23
	v_add3_u32 v27, v25, v27, v26
	v_bfe_u32 v25, v4, 20, 1
	v_add_u32_e32 v25, -1, v25
	v_cmp_eq_u64_e32 vcc, v[22:23], v[48:49]
	v_cndmask_b32_e32 v22, 0, v25, vcc
	v_add_u32_e32 v22, v22, v4
	v_and_b32_e32 v22, 0xfffff, v22
	v_add_co_u32_e32 v4, vcc, v22, v4
	v_add_u32_e32 v26, 6, v27
	v_addc_co_u32_e32 v5, vcc, 0, v5, vcc
	v_cmp_ne_u32_e32 vcc, 0, v26
                                        ; implicit-def: $vgpr25
	s_and_saveexec_b64 s[18:19], vcc
	s_xor_b64 s[18:19], exec, s[18:19]
; %bb.97:                               ;   in Loop: Header=BB2_65 Depth=2
	v_add_u32_e32 v22, 7, v27
	v_cmp_lt_u64_e32 vcc, s[40:41], v[4:5]
	v_cndmask_b32_e32 v25, v26, v22, vcc
	v_cndmask_b32_e64 v22, 0, 1, vcc
	v_lshrrev_b64 v[4:5], v22, v[4:5]
; %bb.98:                               ;   in Loop: Header=BB2_65 Depth=2
	s_andn2_saveexec_b64 s[18:19], s[18:19]
; %bb.99:                               ;   in Loop: Header=BB2_65 Depth=2
	v_bfe_u32 v25, v4, 23, 1
; %bb.100:                              ;   in Loop: Header=BB2_65 Depth=2
	s_or_b64 exec, exec, s[18:19]
	v_lshrrev_b64 v[4:5], 20, v[4:5]
	v_cmp_gt_i32_e32 vcc, 16, v25
	v_cndmask_b32_e32 v5, 0, v5, vcc
	v_cndmask_b32_e32 v4, 7, v4, vcc
	v_cmp_eq_u64_e64 s[18:19], 0, v[4:5]
	v_min_i32_e32 v5, 15, v25
	v_cmp_eq_u32_e32 vcc, 0, v25
	v_lshlrev_b32_e32 v5, 3, v5
	v_and_or_b32 v4, v4, 7, v5
	s_and_b64 s[18:19], vcc, s[18:19]
	v_cndmask_b32_e64 v4, v4, 0, s[18:19]
	v_or_b32_e32 v25, v4, v2
.LBB2_101:                              ;   in Loop: Header=BB2_65 Depth=2
	s_or_b64 exec, exec, s[50:51]
.LBB2_102:                              ;   in Loop: Header=BB2_65 Depth=2
	s_or_b64 exec, exec, s[48:49]
                                        ; implicit-def: $vgpr26
                                        ; implicit-def: $vgpr4_vgpr5
.LBB2_103:                              ;   in Loop: Header=BB2_65 Depth=2
	s_andn2_saveexec_b64 s[18:19], s[46:47]
; %bb.104:                              ;   in Loop: Header=BB2_65 Depth=2
	v_or_b32_sdwa v2, v26, s62 dst_sel:DWORD dst_unused:UNUSED_PAD src0_sel:BYTE_3 src1_sel:DWORD
	v_cmp_eq_u64_e32 vcc, 0, v[4:5]
	v_cndmask_b32_e32 v25, v2, v25, vcc
; %bb.105:                              ;   in Loop: Header=BB2_65 Depth=2
	s_or_b64 exec, exec, s[18:19]
	v_and_b32_sdwa v5, v42, s60 dst_sel:DWORD dst_unused:UNUSED_PAD src0_sel:WORD_1 src1_sel:DWORD
	v_lshrrev_b32_e32 v2, 16, v42
	v_cmp_ne_u16_e32 vcc, 0, v5
	v_mov_b32_e32 v4, 0
	s_and_saveexec_b64 s[18:19], vcc
	s_cbranch_execz .LBB2_111
; %bb.106:                              ;   in Loop: Header=BB2_65 Depth=2
	v_cmp_ne_u16_e32 vcc, s61, v5
	v_bfrev_b32_e32 v4, 1
	s_and_saveexec_b64 s[46:47], vcc
	s_cbranch_execz .LBB2_110
; %bb.107:                              ;   in Loop: Header=BB2_65 Depth=2
	v_bfe_u32 v5, v42, 16, 7
	v_cmp_ne_u32_e32 vcc, s62, v5
	v_mov_b32_e32 v4, 0x7f800001
	s_and_saveexec_b64 s[48:49], vcc
	s_cbranch_execz .LBB2_109
; %bb.108:                              ;   in Loop: Header=BB2_65 Depth=2
	v_and_b32_e32 v4, 7, v2
	v_ffbh_u32_e32 v22, v4
	v_min_u32_e32 v27, 32, v22
	v_subrev_u32_e32 v22, 28, v27
	v_lshlrev_b64 v[22:23], v22, v[2:3]
	v_lshrrev_b32_e32 v26, 3, v5
	v_sub_u32_e32 v2, 29, v27
	v_and_b32_e32 v22, 7, v22
	v_cmp_gt_u32_e32 vcc, 8, v5
	v_cndmask_b32_e32 v2, v26, v2, vcc
	v_cndmask_b32_e32 v4, v4, v22, vcc
	v_lshlrev_b32_sdwa v5, v7, v42 dst_sel:DWORD dst_unused:UNUSED_PAD src0_sel:DWORD src1_sel:WORD_1
	v_lshlrev_b32_e32 v4, 20, v4
	v_and_b32_e32 v5, 0x80000000, v5
	v_lshl_add_u32 v2, v2, 23, v47
	v_or3_b32 v4, v5, v2, v4
.LBB2_109:                              ;   in Loop: Header=BB2_65 Depth=2
	s_or_b64 exec, exec, s[48:49]
.LBB2_110:                              ;   in Loop: Header=BB2_65 Depth=2
	s_or_b64 exec, exec, s[46:47]
.LBB2_111:                              ;   in Loop: Header=BB2_65 Depth=2
	s_or_b64 exec, exec, s[18:19]
	v_mul_f32_e32 v27, v62, v4
	v_and_b32_sdwa v2, v27, s61 dst_sel:DWORD dst_unused:UNUSED_PAD src0_sel:BYTE_3 src1_sel:DWORD
	v_and_b32_e32 v22, 0x7f800000, v27
	v_mov_b32_e32 v23, v43
	v_and_b32_e32 v4, 0x7fffff, v27
	v_mov_b32_e32 v5, v43
	v_or_b32_e32 v26, 0x7e, v2
	v_cmp_ne_u64_e32 vcc, s[36:37], v[22:23]
	s_and_saveexec_b64 s[18:19], vcc
	s_xor_b64 s[46:47], exec, s[18:19]
	s_cbranch_execz .LBB2_121
; %bb.112:                              ;   in Loop: Header=BB2_65 Depth=2
	v_and_b32_e32 v22, 0x7fffffff, v27
	v_mov_b32_e32 v23, v43
	v_cmp_gt_u64_e32 vcc, s[38:39], v[22:23]
	s_and_saveexec_b64 s[48:49], vcc
	s_cbranch_execz .LBB2_120
; %bb.113:                              ;   in Loop: Header=BB2_65 Depth=2
	v_cmp_ne_u32_e32 vcc, 0, v27
	v_mov_b32_e32 v26, 0
	s_and_saveexec_b64 s[50:51], vcc
	s_cbranch_execz .LBB2_119
; %bb.114:                              ;   in Loop: Header=BB2_65 Depth=2
	v_bfe_u32 v22, v27, 23, 8
	v_sub_u32_e32 v26, 0x79, v22
	v_cmp_gt_u32_e32 vcc, s63, v22
	v_cndmask_b32_e32 v26, 0, v26, vcc
	v_cmp_eq_u32_e32 vcc, 0, v22
	v_cndmask_b32_e32 v26, v26, v6, vcc
	v_add_u32_e32 v23, 0xffffff81, v22
	v_add_u32_e32 v22, 20, v26
	v_or_b32_e32 v27, 0x800000, v4
	v_cndmask_b32_e32 v31, v23, v30, vcc
	v_lshlrev_b64 v[22:23], v22, -1
	v_cndmask_b32_e32 v4, v27, v4, vcc
	v_not_b32_e32 v22, v22
	v_and_b32_e32 v22, v4, v22
	v_add_u32_e32 v27, 19, v26
	v_lshrrev_b64 v[4:5], v26, v[4:5]
	v_not_b32_e32 v23, v23
	v_lshlrev_b64 v[48:49], v27, 1
	v_lshrrev_b32_e32 v27, 23, v4
	v_and_b32_e32 v23, 0, v23
	v_add3_u32 v31, v26, v31, v27
	v_bfe_u32 v26, v4, 20, 1
	v_add_u32_e32 v26, -1, v26
	v_cmp_eq_u64_e32 vcc, v[22:23], v[48:49]
	v_cndmask_b32_e32 v22, 0, v26, vcc
	v_add_u32_e32 v22, v22, v4
	v_and_b32_e32 v22, 0xfffff, v22
	v_add_co_u32_e32 v4, vcc, v22, v4
	v_add_u32_e32 v27, 6, v31
	v_addc_co_u32_e32 v5, vcc, 0, v5, vcc
	v_cmp_ne_u32_e32 vcc, 0, v27
                                        ; implicit-def: $vgpr26
	s_and_saveexec_b64 s[18:19], vcc
	s_xor_b64 s[18:19], exec, s[18:19]
; %bb.115:                              ;   in Loop: Header=BB2_65 Depth=2
	v_add_u32_e32 v22, 7, v31
	v_cmp_lt_u64_e32 vcc, s[40:41], v[4:5]
	v_cndmask_b32_e32 v26, v27, v22, vcc
	v_cndmask_b32_e64 v22, 0, 1, vcc
	v_lshrrev_b64 v[4:5], v22, v[4:5]
; %bb.116:                              ;   in Loop: Header=BB2_65 Depth=2
	s_andn2_saveexec_b64 s[18:19], s[18:19]
; %bb.117:                              ;   in Loop: Header=BB2_65 Depth=2
	v_bfe_u32 v26, v4, 23, 1
; %bb.118:                              ;   in Loop: Header=BB2_65 Depth=2
	s_or_b64 exec, exec, s[18:19]
	v_lshrrev_b64 v[4:5], 20, v[4:5]
	v_cmp_gt_i32_e32 vcc, 16, v26
	v_cndmask_b32_e32 v5, 0, v5, vcc
	v_cndmask_b32_e32 v4, 7, v4, vcc
	v_cmp_eq_u64_e64 s[18:19], 0, v[4:5]
	v_min_i32_e32 v5, 15, v26
	v_cmp_eq_u32_e32 vcc, 0, v26
	v_lshlrev_b32_e32 v5, 3, v5
	v_and_or_b32 v4, v4, 7, v5
	s_and_b64 s[18:19], vcc, s[18:19]
	v_cndmask_b32_e64 v4, v4, 0, s[18:19]
	v_or_b32_e32 v26, v4, v2
.LBB2_119:                              ;   in Loop: Header=BB2_65 Depth=2
	s_or_b64 exec, exec, s[50:51]
.LBB2_120:                              ;   in Loop: Header=BB2_65 Depth=2
	s_or_b64 exec, exec, s[48:49]
                                        ; implicit-def: $vgpr27
                                        ; implicit-def: $vgpr4_vgpr5
.LBB2_121:                              ;   in Loop: Header=BB2_65 Depth=2
	s_andn2_saveexec_b64 s[18:19], s[46:47]
; %bb.122:                              ;   in Loop: Header=BB2_65 Depth=2
	v_or_b32_sdwa v2, v27, s62 dst_sel:DWORD dst_unused:UNUSED_PAD src0_sel:BYTE_3 src1_sel:DWORD
	v_cmp_eq_u64_e32 vcc, 0, v[4:5]
	v_cndmask_b32_e32 v26, v2, v26, vcc
; %bb.123:                              ;   in Loop: Header=BB2_65 Depth=2
	s_or_b64 exec, exec, s[18:19]
	v_cmp_lt_u32_e32 vcc, s64, v42
	v_mov_b32_e32 v4, 0
	s_and_saveexec_b64 s[18:19], vcc
	s_cbranch_execz .LBB2_129
; %bb.124:                              ;   in Loop: Header=BB2_65 Depth=2
	v_lshrrev_b32_e32 v2, 24, v42
	v_cmp_ne_u32_sdwa vcc, v42, s61 src0_sel:BYTE_3 src1_sel:DWORD
	v_bfrev_b32_e32 v4, 1
	s_and_saveexec_b64 s[46:47], vcc
	s_cbranch_execz .LBB2_128
; %bb.125:                              ;   in Loop: Header=BB2_65 Depth=2
	v_bfe_u32 v5, v42, 24, 7
	v_cmp_ne_u32_e32 vcc, s62, v5
	v_mov_b32_e32 v4, 0x7f800001
	s_and_saveexec_b64 s[48:49], vcc
	s_cbranch_execz .LBB2_127
; %bb.126:                              ;   in Loop: Header=BB2_65 Depth=2
	v_and_b32_e32 v4, 7, v2
	v_ffbh_u32_e32 v22, v4
	v_min_u32_e32 v31, 32, v22
	v_subrev_u32_e32 v22, 28, v31
	v_lshlrev_b64 v[22:23], v22, v[2:3]
	v_lshrrev_b32_e32 v27, 3, v5
	v_sub_u32_e32 v2, 29, v31
	v_and_b32_e32 v22, 7, v22
	v_cmp_gt_u32_e32 vcc, 8, v5
	v_cndmask_b32_e32 v2, v27, v2, vcc
	v_cndmask_b32_e32 v4, v4, v22, vcc
	v_lshlrev_b32_sdwa v5, v7, v42 dst_sel:DWORD dst_unused:UNUSED_PAD src0_sel:DWORD src1_sel:BYTE_3
	v_lshlrev_b32_e32 v4, 20, v4
	v_and_b32_e32 v5, 0x80000000, v5
	v_lshl_add_u32 v2, v2, 23, v47
	v_or3_b32 v4, v5, v2, v4
.LBB2_127:                              ;   in Loop: Header=BB2_65 Depth=2
	s_or_b64 exec, exec, s[48:49]
.LBB2_128:                              ;   in Loop: Header=BB2_65 Depth=2
	s_or_b64 exec, exec, s[46:47]
.LBB2_129:                              ;   in Loop: Header=BB2_65 Depth=2
	s_or_b64 exec, exec, s[18:19]
	v_mul_f32_e32 v4, v62, v4
	v_and_b32_sdwa v2, v4, s61 dst_sel:DWORD dst_unused:UNUSED_PAD src0_sel:BYTE_3 src1_sel:DWORD
	v_and_b32_e32 v22, 0x7f800000, v4
	v_mov_b32_e32 v23, v43
	v_and_b32_e32 v42, 0x7fffff, v4
	v_or_b32_e32 v27, 0x7e, v2
	v_cmp_ne_u64_e32 vcc, s[36:37], v[22:23]
	s_and_saveexec_b64 s[18:19], vcc
	s_xor_b64 s[46:47], exec, s[18:19]
	s_cbranch_execz .LBB2_139
; %bb.130:                              ;   in Loop: Header=BB2_65 Depth=2
	v_and_b32_e32 v22, 0x7fffffff, v4
	v_mov_b32_e32 v23, v43
	v_cmp_gt_u64_e32 vcc, s[38:39], v[22:23]
	s_and_saveexec_b64 s[48:49], vcc
	s_cbranch_execz .LBB2_138
; %bb.131:                              ;   in Loop: Header=BB2_65 Depth=2
	v_cmp_ne_u32_e32 vcc, 0, v4
	v_mov_b32_e32 v27, 0
	s_and_saveexec_b64 s[50:51], vcc
	s_cbranch_execz .LBB2_137
; %bb.132:                              ;   in Loop: Header=BB2_65 Depth=2
	v_bfe_u32 v4, v4, 23, 8
	v_sub_u32_e32 v22, 0x79, v4
	v_cmp_gt_u32_e32 vcc, s63, v4
	v_cndmask_b32_e32 v22, 0, v22, vcc
	v_cmp_eq_u32_e32 vcc, 0, v4
	v_or_b32_e32 v23, 0x800000, v42
	v_cndmask_b32_e32 v31, v22, v6, vcc
	v_add_u32_e32 v5, 0xffffff81, v4
	v_cndmask_b32_e32 v42, v23, v42, vcc
	v_add_u32_e32 v4, 20, v31
	v_cndmask_b32_e32 v27, v5, v30, vcc
	v_lshlrev_b64 v[4:5], v4, -1
	v_lshrrev_b64 v[48:49], v31, v[42:43]
	v_not_b32_e32 v5, v5
	v_not_b32_e32 v4, v4
	v_add_u32_e32 v22, 19, v31
	v_lshrrev_b32_e32 v33, 23, v48
	v_and_b32_e32 v5, 0, v5
	v_and_b32_e32 v4, v42, v4
	v_lshlrev_b64 v[22:23], v22, 1
	v_add3_u32 v33, v31, v27, v33
	v_bfe_u32 v27, v48, 20, 1
	v_add_u32_e32 v27, -1, v27
	v_cmp_eq_u64_e32 vcc, v[4:5], v[22:23]
	v_cndmask_b32_e32 v4, 0, v27, vcc
	v_add_u32_e32 v4, v4, v48
	v_and_b32_e32 v4, 0xfffff, v4
	v_add_co_u32_e32 v4, vcc, v4, v48
	v_add_u32_e32 v31, 6, v33
	v_addc_co_u32_e32 v5, vcc, 0, v49, vcc
	v_cmp_ne_u32_e32 vcc, 0, v31
                                        ; implicit-def: $vgpr27
	s_and_saveexec_b64 s[18:19], vcc
	s_xor_b64 s[18:19], exec, s[18:19]
; %bb.133:                              ;   in Loop: Header=BB2_65 Depth=2
	v_add_u32_e32 v22, 7, v33
	v_cmp_lt_u64_e32 vcc, s[40:41], v[4:5]
	v_cndmask_b32_e32 v27, v31, v22, vcc
	v_cndmask_b32_e64 v22, 0, 1, vcc
	v_lshrrev_b64 v[4:5], v22, v[4:5]
; %bb.134:                              ;   in Loop: Header=BB2_65 Depth=2
	s_andn2_saveexec_b64 s[18:19], s[18:19]
; %bb.135:                              ;   in Loop: Header=BB2_65 Depth=2
	v_bfe_u32 v27, v4, 23, 1
; %bb.136:                              ;   in Loop: Header=BB2_65 Depth=2
	s_or_b64 exec, exec, s[18:19]
	v_lshrrev_b64 v[4:5], 20, v[4:5]
	v_cmp_gt_i32_e32 vcc, 16, v27
	v_cndmask_b32_e32 v5, 0, v5, vcc
	v_cndmask_b32_e32 v4, 7, v4, vcc
	v_cmp_eq_u64_e64 s[18:19], 0, v[4:5]
	v_min_i32_e32 v5, 15, v27
	v_cmp_eq_u32_e32 vcc, 0, v27
	v_lshlrev_b32_e32 v5, 3, v5
	v_and_or_b32 v4, v4, 7, v5
	s_and_b64 s[18:19], vcc, s[18:19]
	v_cndmask_b32_e64 v4, v4, 0, s[18:19]
	v_or_b32_e32 v27, v4, v2
.LBB2_137:                              ;   in Loop: Header=BB2_65 Depth=2
	s_or_b64 exec, exec, s[50:51]
.LBB2_138:                              ;   in Loop: Header=BB2_65 Depth=2
	s_or_b64 exec, exec, s[48:49]
                                        ; implicit-def: $vgpr4
.LBB2_139:                              ;   in Loop: Header=BB2_65 Depth=2
	s_andn2_saveexec_b64 s[18:19], s[46:47]
; %bb.140:                              ;   in Loop: Header=BB2_65 Depth=2
	v_or_b32_sdwa v2, v4, s62 dst_sel:DWORD dst_unused:UNUSED_PAD src0_sel:BYTE_3 src1_sel:DWORD
	v_cmp_eq_u64_e32 vcc, 0, v[42:43]
	v_cndmask_b32_e32 v27, v2, v27, vcc
; %bb.141:                              ;   in Loop: Header=BB2_65 Depth=2
	s_or_b64 exec, exec, s[18:19]
	v_alignbit_b32 v42, v29, v28, v9
	v_cmp_ne_u16_sdwa vcc, v42, v43 src0_sel:BYTE_0 src1_sel:DWORD
	v_mov_b32_e32 v2, 0
	s_and_saveexec_b64 s[18:19], vcc
	s_cbranch_execz .LBB2_147
; %bb.142:                              ;   in Loop: Header=BB2_65 Depth=2
	v_cmp_ne_u16_sdwa vcc, v42, s61 src0_sel:BYTE_0 src1_sel:DWORD
	v_bfrev_b32_e32 v2, 1
	s_and_saveexec_b64 s[46:47], vcc
	s_cbranch_execz .LBB2_146
; %bb.143:                              ;   in Loop: Header=BB2_65 Depth=2
	v_and_b32_e32 v4, 0x7f, v42
	v_cmp_ne_u32_e32 vcc, s62, v4
	v_mov_b32_e32 v2, 0x7f800001
	s_and_saveexec_b64 s[48:49], vcc
	s_cbranch_execz .LBB2_145
; %bb.144:                              ;   in Loop: Header=BB2_65 Depth=2
	v_and_b32_e32 v2, 7, v42
	v_ffbh_u32_e32 v2, v2
	v_min_u32_e32 v2, 32, v2
	v_subrev_u32_e32 v22, 28, v2
	v_cmp_gt_u32_e32 vcc, 8, v4
	v_lshrrev_b32_e32 v5, 3, v4
	v_sub_u32_e32 v2, 29, v2
	v_cndmask_b32_e32 v4, 0, v22, vcc
	v_cndmask_b32_e32 v2, v5, v2, vcc
	v_lshlrev_b64 v[4:5], v4, v[42:43]
	v_lshlrev_b32_e32 v4, 20, v4
	v_lshlrev_b32_e32 v5, 24, v42
	v_and_b32_e32 v4, 0x700000, v4
	v_and_b32_e32 v5, 0x80000000, v5
	v_lshl_add_u32 v2, v2, 23, v47
	v_or3_b32 v2, v5, v2, v4
.LBB2_145:                              ;   in Loop: Header=BB2_65 Depth=2
	s_or_b64 exec, exec, s[48:49]
.LBB2_146:                              ;   in Loop: Header=BB2_65 Depth=2
	s_or_b64 exec, exec, s[46:47]
.LBB2_147:                              ;   in Loop: Header=BB2_65 Depth=2
	s_or_b64 exec, exec, s[18:19]
	v_mul_f32_e32 v29, v62, v2
	v_and_b32_sdwa v2, v29, s61 dst_sel:DWORD dst_unused:UNUSED_PAD src0_sel:BYTE_3 src1_sel:DWORD
	v_and_b32_e32 v22, 0x7f800000, v29
	v_mov_b32_e32 v23, v43
	v_and_b32_e32 v4, 0x7fffff, v29
	v_mov_b32_e32 v5, v43
	v_or_b32_e32 v28, 0x7e, v2
	v_cmp_ne_u64_e32 vcc, s[36:37], v[22:23]
	s_and_saveexec_b64 s[18:19], vcc
	s_xor_b64 s[46:47], exec, s[18:19]
	s_cbranch_execz .LBB2_157
; %bb.148:                              ;   in Loop: Header=BB2_65 Depth=2
	v_and_b32_e32 v22, 0x7fffffff, v29
	v_mov_b32_e32 v23, v43
	v_cmp_gt_u64_e32 vcc, s[38:39], v[22:23]
	s_and_saveexec_b64 s[48:49], vcc
	s_cbranch_execz .LBB2_156
; %bb.149:                              ;   in Loop: Header=BB2_65 Depth=2
	v_cmp_ne_u32_e32 vcc, 0, v29
	v_mov_b32_e32 v28, 0
	s_and_saveexec_b64 s[50:51], vcc
	s_cbranch_execz .LBB2_155
; %bb.150:                              ;   in Loop: Header=BB2_65 Depth=2
	v_bfe_u32 v22, v29, 23, 8
	v_sub_u32_e32 v28, 0x79, v22
	v_cmp_gt_u32_e32 vcc, s63, v22
	v_cndmask_b32_e32 v28, 0, v28, vcc
	v_cmp_eq_u32_e32 vcc, 0, v22
	v_cndmask_b32_e32 v28, v28, v6, vcc
	v_add_u32_e32 v23, 0xffffff81, v22
	v_add_u32_e32 v22, 20, v28
	v_or_b32_e32 v29, 0x800000, v4
	v_cndmask_b32_e32 v31, v23, v30, vcc
	v_lshlrev_b64 v[22:23], v22, -1
	v_cndmask_b32_e32 v4, v29, v4, vcc
	v_not_b32_e32 v22, v22
	v_and_b32_e32 v22, v4, v22
	v_add_u32_e32 v29, 19, v28
	v_lshrrev_b64 v[4:5], v28, v[4:5]
	v_not_b32_e32 v23, v23
	v_lshlrev_b64 v[48:49], v29, 1
	v_lshrrev_b32_e32 v29, 23, v4
	v_and_b32_e32 v23, 0, v23
	v_add3_u32 v31, v28, v31, v29
	v_bfe_u32 v28, v4, 20, 1
	v_add_u32_e32 v28, -1, v28
	v_cmp_eq_u64_e32 vcc, v[22:23], v[48:49]
	v_cndmask_b32_e32 v22, 0, v28, vcc
	v_add_u32_e32 v22, v22, v4
	v_and_b32_e32 v22, 0xfffff, v22
	v_add_co_u32_e32 v4, vcc, v22, v4
	v_add_u32_e32 v29, 6, v31
	v_addc_co_u32_e32 v5, vcc, 0, v5, vcc
	v_cmp_ne_u32_e32 vcc, 0, v29
                                        ; implicit-def: $vgpr28
	s_and_saveexec_b64 s[18:19], vcc
	s_xor_b64 s[18:19], exec, s[18:19]
; %bb.151:                              ;   in Loop: Header=BB2_65 Depth=2
	v_add_u32_e32 v22, 7, v31
	v_cmp_lt_u64_e32 vcc, s[40:41], v[4:5]
	v_cndmask_b32_e32 v28, v29, v22, vcc
	v_cndmask_b32_e64 v22, 0, 1, vcc
	v_lshrrev_b64 v[4:5], v22, v[4:5]
; %bb.152:                              ;   in Loop: Header=BB2_65 Depth=2
	s_andn2_saveexec_b64 s[18:19], s[18:19]
; %bb.153:                              ;   in Loop: Header=BB2_65 Depth=2
	v_bfe_u32 v28, v4, 23, 1
; %bb.154:                              ;   in Loop: Header=BB2_65 Depth=2
	s_or_b64 exec, exec, s[18:19]
	v_lshrrev_b64 v[4:5], 20, v[4:5]
	v_cmp_gt_i32_e32 vcc, 16, v28
	v_cndmask_b32_e32 v5, 0, v5, vcc
	v_cndmask_b32_e32 v4, 7, v4, vcc
	v_cmp_eq_u64_e64 s[18:19], 0, v[4:5]
	v_min_i32_e32 v5, 15, v28
	v_cmp_eq_u32_e32 vcc, 0, v28
	v_lshlrev_b32_e32 v5, 3, v5
	v_and_or_b32 v4, v4, 7, v5
	s_and_b64 s[18:19], vcc, s[18:19]
	v_cndmask_b32_e64 v4, v4, 0, s[18:19]
	v_or_b32_e32 v28, v4, v2
.LBB2_155:                              ;   in Loop: Header=BB2_65 Depth=2
	s_or_b64 exec, exec, s[50:51]
.LBB2_156:                              ;   in Loop: Header=BB2_65 Depth=2
	s_or_b64 exec, exec, s[48:49]
                                        ; implicit-def: $vgpr29
                                        ; implicit-def: $vgpr4_vgpr5
.LBB2_157:                              ;   in Loop: Header=BB2_65 Depth=2
	s_andn2_saveexec_b64 s[18:19], s[46:47]
; %bb.158:                              ;   in Loop: Header=BB2_65 Depth=2
	v_or_b32_sdwa v2, v29, s62 dst_sel:DWORD dst_unused:UNUSED_PAD src0_sel:BYTE_3 src1_sel:DWORD
	v_cmp_eq_u64_e32 vcc, 0, v[4:5]
	v_cndmask_b32_e32 v28, v2, v28, vcc
; %bb.159:                              ;   in Loop: Header=BB2_65 Depth=2
	s_or_b64 exec, exec, s[18:19]
	v_lshrrev_b16_e32 v2, 8, v42
	v_cmp_ne_u16_e32 vcc, 0, v2
	v_mov_b32_e32 v4, 0
	s_and_saveexec_b64 s[18:19], vcc
	s_cbranch_execz .LBB2_165
; %bb.160:                              ;   in Loop: Header=BB2_65 Depth=2
	v_cmp_ne_u16_e32 vcc, s61, v2
	v_bfrev_b32_e32 v4, 1
	s_and_saveexec_b64 s[46:47], vcc
	s_cbranch_execz .LBB2_164
; %bb.161:                              ;   in Loop: Header=BB2_65 Depth=2
	v_and_b32_e32 v5, 0x7f, v2
	v_cmp_ne_u32_e32 vcc, s62, v5
	v_mov_b32_e32 v4, 0x7f800001
	s_and_saveexec_b64 s[48:49], vcc
	s_cbranch_execz .LBB2_163
; %bb.162:                              ;   in Loop: Header=BB2_65 Depth=2
	v_and_b32_e32 v4, 7, v2
	v_ffbh_u32_e32 v22, v4
	v_min_u32_e32 v31, 32, v22
	v_subrev_u32_e32 v22, 28, v31
	v_lshlrev_b64 v[22:23], v22, v[2:3]
	v_lshrrev_b32_e32 v29, 3, v5
	v_sub_u32_e32 v2, 29, v31
	v_and_b32_e32 v22, 7, v22
	v_cmp_gt_u32_e32 vcc, 8, v5
	v_cndmask_b32_e32 v2, v29, v2, vcc
	v_cndmask_b32_e32 v4, v4, v22, vcc
	v_lshlrev_b32_e32 v5, 16, v42
	v_lshlrev_b32_e32 v4, 20, v4
	v_and_b32_e32 v5, 0x80000000, v5
	v_lshl_add_u32 v2, v2, 23, v47
	v_or3_b32 v4, v5, v2, v4
.LBB2_163:                              ;   in Loop: Header=BB2_65 Depth=2
	s_or_b64 exec, exec, s[48:49]
.LBB2_164:                              ;   in Loop: Header=BB2_65 Depth=2
	s_or_b64 exec, exec, s[46:47]
.LBB2_165:                              ;   in Loop: Header=BB2_65 Depth=2
	s_or_b64 exec, exec, s[18:19]
	v_mul_f32_e32 v31, v62, v4
	v_and_b32_sdwa v2, v31, s61 dst_sel:DWORD dst_unused:UNUSED_PAD src0_sel:BYTE_3 src1_sel:DWORD
	v_and_b32_e32 v22, 0x7f800000, v31
	v_mov_b32_e32 v23, v43
	v_and_b32_e32 v4, 0x7fffff, v31
	v_mov_b32_e32 v5, v43
	v_or_b32_e32 v29, 0x7e, v2
	v_cmp_ne_u64_e32 vcc, s[36:37], v[22:23]
	s_and_saveexec_b64 s[18:19], vcc
	s_xor_b64 s[46:47], exec, s[18:19]
	s_cbranch_execz .LBB2_175
; %bb.166:                              ;   in Loop: Header=BB2_65 Depth=2
	v_and_b32_e32 v22, 0x7fffffff, v31
	v_mov_b32_e32 v23, v43
	v_cmp_gt_u64_e32 vcc, s[38:39], v[22:23]
	s_and_saveexec_b64 s[48:49], vcc
	s_cbranch_execz .LBB2_174
; %bb.167:                              ;   in Loop: Header=BB2_65 Depth=2
	v_cmp_ne_u32_e32 vcc, 0, v31
	v_mov_b32_e32 v29, 0
	s_and_saveexec_b64 s[50:51], vcc
	s_cbranch_execz .LBB2_173
; %bb.168:                              ;   in Loop: Header=BB2_65 Depth=2
	v_bfe_u32 v22, v31, 23, 8
	v_sub_u32_e32 v29, 0x79, v22
	v_cmp_gt_u32_e32 vcc, s63, v22
	v_cndmask_b32_e32 v29, 0, v29, vcc
	v_cmp_eq_u32_e32 vcc, 0, v22
	v_cndmask_b32_e32 v29, v29, v6, vcc
	v_add_u32_e32 v23, 0xffffff81, v22
	v_add_u32_e32 v22, 20, v29
	v_or_b32_e32 v31, 0x800000, v4
	v_cndmask_b32_e32 v33, v23, v30, vcc
	v_lshlrev_b64 v[22:23], v22, -1
	v_cndmask_b32_e32 v4, v31, v4, vcc
	v_not_b32_e32 v22, v22
	v_and_b32_e32 v22, v4, v22
	v_add_u32_e32 v31, 19, v29
	v_lshrrev_b64 v[4:5], v29, v[4:5]
	v_not_b32_e32 v23, v23
	v_lshlrev_b64 v[48:49], v31, 1
	v_lshrrev_b32_e32 v31, 23, v4
	v_and_b32_e32 v23, 0, v23
	v_add3_u32 v33, v29, v33, v31
	v_bfe_u32 v29, v4, 20, 1
	v_add_u32_e32 v29, -1, v29
	v_cmp_eq_u64_e32 vcc, v[22:23], v[48:49]
	v_cndmask_b32_e32 v22, 0, v29, vcc
	v_add_u32_e32 v22, v22, v4
	v_and_b32_e32 v22, 0xfffff, v22
	v_add_co_u32_e32 v4, vcc, v22, v4
	v_add_u32_e32 v31, 6, v33
	v_addc_co_u32_e32 v5, vcc, 0, v5, vcc
	v_cmp_ne_u32_e32 vcc, 0, v31
                                        ; implicit-def: $vgpr29
	s_and_saveexec_b64 s[18:19], vcc
	s_xor_b64 s[18:19], exec, s[18:19]
; %bb.169:                              ;   in Loop: Header=BB2_65 Depth=2
	v_add_u32_e32 v22, 7, v33
	v_cmp_lt_u64_e32 vcc, s[40:41], v[4:5]
	v_cndmask_b32_e32 v29, v31, v22, vcc
	v_cndmask_b32_e64 v22, 0, 1, vcc
	v_lshrrev_b64 v[4:5], v22, v[4:5]
; %bb.170:                              ;   in Loop: Header=BB2_65 Depth=2
	s_andn2_saveexec_b64 s[18:19], s[18:19]
; %bb.171:                              ;   in Loop: Header=BB2_65 Depth=2
	v_bfe_u32 v29, v4, 23, 1
; %bb.172:                              ;   in Loop: Header=BB2_65 Depth=2
	s_or_b64 exec, exec, s[18:19]
	v_lshrrev_b64 v[4:5], 20, v[4:5]
	v_cmp_gt_i32_e32 vcc, 16, v29
	v_cndmask_b32_e32 v5, 0, v5, vcc
	v_cndmask_b32_e32 v4, 7, v4, vcc
	v_cmp_eq_u64_e64 s[18:19], 0, v[4:5]
	v_min_i32_e32 v5, 15, v29
	v_lshlrev_b32_e32 v5, 3, v5
	v_cmp_eq_u32_e32 vcc, 0, v29
	v_and_b32_e32 v5, 0xf8, v5
	v_and_or_b32 v4, v4, 7, v5
	s_and_b64 s[18:19], vcc, s[18:19]
	v_cndmask_b32_e64 v4, v4, 0, s[18:19]
	v_or_b32_e32 v29, v4, v2
.LBB2_173:                              ;   in Loop: Header=BB2_65 Depth=2
	s_or_b64 exec, exec, s[50:51]
.LBB2_174:                              ;   in Loop: Header=BB2_65 Depth=2
	s_or_b64 exec, exec, s[48:49]
                                        ; implicit-def: $vgpr31
                                        ; implicit-def: $vgpr4_vgpr5
.LBB2_175:                              ;   in Loop: Header=BB2_65 Depth=2
	s_andn2_saveexec_b64 s[18:19], s[46:47]
; %bb.176:                              ;   in Loop: Header=BB2_65 Depth=2
	v_or_b32_sdwa v2, v31, s62 dst_sel:DWORD dst_unused:UNUSED_PAD src0_sel:BYTE_3 src1_sel:DWORD
	v_cmp_eq_u64_e32 vcc, 0, v[4:5]
	v_cndmask_b32_e32 v29, v2, v29, vcc
; %bb.177:                              ;   in Loop: Header=BB2_65 Depth=2
	s_or_b64 exec, exec, s[18:19]
	v_and_b32_sdwa v5, v42, s60 dst_sel:DWORD dst_unused:UNUSED_PAD src0_sel:WORD_1 src1_sel:DWORD
	v_lshrrev_b32_e32 v2, 16, v42
	v_cmp_ne_u16_e32 vcc, 0, v5
	v_mov_b32_e32 v4, 0
	s_and_saveexec_b64 s[18:19], vcc
	s_cbranch_execz .LBB2_183
; %bb.178:                              ;   in Loop: Header=BB2_65 Depth=2
	v_cmp_ne_u16_e32 vcc, s61, v5
	v_bfrev_b32_e32 v4, 1
	s_and_saveexec_b64 s[46:47], vcc
	s_cbranch_execz .LBB2_182
; %bb.179:                              ;   in Loop: Header=BB2_65 Depth=2
	v_bfe_u32 v5, v42, 16, 7
	v_cmp_ne_u32_e32 vcc, s62, v5
	v_mov_b32_e32 v4, 0x7f800001
	s_and_saveexec_b64 s[48:49], vcc
	s_cbranch_execz .LBB2_181
; %bb.180:                              ;   in Loop: Header=BB2_65 Depth=2
	v_and_b32_e32 v4, 7, v2
	v_ffbh_u32_e32 v22, v4
	v_min_u32_e32 v33, 32, v22
	v_subrev_u32_e32 v22, 28, v33
	v_lshlrev_b64 v[22:23], v22, v[2:3]
	v_lshrrev_b32_e32 v31, 3, v5
	v_sub_u32_e32 v2, 29, v33
	v_and_b32_e32 v22, 7, v22
	v_cmp_gt_u32_e32 vcc, 8, v5
	v_cndmask_b32_e32 v2, v31, v2, vcc
	v_cndmask_b32_e32 v4, v4, v22, vcc
	v_lshlrev_b32_sdwa v5, v7, v42 dst_sel:DWORD dst_unused:UNUSED_PAD src0_sel:DWORD src1_sel:WORD_1
	v_lshlrev_b32_e32 v4, 20, v4
	v_and_b32_e32 v5, 0x80000000, v5
	v_lshl_add_u32 v2, v2, 23, v47
	v_or3_b32 v4, v5, v2, v4
.LBB2_181:                              ;   in Loop: Header=BB2_65 Depth=2
	s_or_b64 exec, exec, s[48:49]
.LBB2_182:                              ;   in Loop: Header=BB2_65 Depth=2
	s_or_b64 exec, exec, s[46:47]
.LBB2_183:                              ;   in Loop: Header=BB2_65 Depth=2
	s_or_b64 exec, exec, s[18:19]
	v_mul_f32_e32 v33, v62, v4
	v_and_b32_sdwa v2, v33, s61 dst_sel:DWORD dst_unused:UNUSED_PAD src0_sel:BYTE_3 src1_sel:DWORD
	v_and_b32_e32 v22, 0x7f800000, v33
	v_mov_b32_e32 v23, v43
	v_and_b32_e32 v4, 0x7fffff, v33
	v_mov_b32_e32 v5, v43
	v_or_b32_e32 v31, 0x7e, v2
	v_cmp_ne_u64_e32 vcc, s[36:37], v[22:23]
	s_and_saveexec_b64 s[18:19], vcc
	s_xor_b64 s[46:47], exec, s[18:19]
	s_cbranch_execz .LBB2_193
; %bb.184:                              ;   in Loop: Header=BB2_65 Depth=2
	v_and_b32_e32 v22, 0x7fffffff, v33
	v_mov_b32_e32 v23, v43
	v_cmp_gt_u64_e32 vcc, s[38:39], v[22:23]
	s_and_saveexec_b64 s[48:49], vcc
	s_cbranch_execz .LBB2_192
; %bb.185:                              ;   in Loop: Header=BB2_65 Depth=2
	v_cmp_ne_u32_e32 vcc, 0, v33
	v_mov_b32_e32 v31, 0
	s_and_saveexec_b64 s[50:51], vcc
	s_cbranch_execz .LBB2_191
; %bb.186:                              ;   in Loop: Header=BB2_65 Depth=2
	v_bfe_u32 v22, v33, 23, 8
	v_sub_u32_e32 v31, 0x79, v22
	v_cmp_gt_u32_e32 vcc, s63, v22
	v_cndmask_b32_e32 v31, 0, v31, vcc
	v_cmp_eq_u32_e32 vcc, 0, v22
	v_cndmask_b32_e32 v31, v31, v6, vcc
	v_add_u32_e32 v23, 0xffffff81, v22
	v_add_u32_e32 v22, 20, v31
	v_or_b32_e32 v33, 0x800000, v4
	v_cndmask_b32_e32 v36, v23, v30, vcc
	v_lshlrev_b64 v[22:23], v22, -1
	v_cndmask_b32_e32 v4, v33, v4, vcc
	v_not_b32_e32 v22, v22
	v_and_b32_e32 v22, v4, v22
	v_add_u32_e32 v33, 19, v31
	v_lshrrev_b64 v[4:5], v31, v[4:5]
	v_not_b32_e32 v23, v23
	v_lshlrev_b64 v[60:61], v33, 1
	v_lshrrev_b32_e32 v33, 23, v4
	v_and_b32_e32 v23, 0, v23
	v_add3_u32 v48, v31, v36, v33
	v_bfe_u32 v31, v4, 20, 1
	v_add_u32_e32 v31, -1, v31
	v_cmp_eq_u64_e32 vcc, v[22:23], v[60:61]
	v_cndmask_b32_e32 v22, 0, v31, vcc
	v_add_u32_e32 v22, v22, v4
	v_and_b32_e32 v22, 0xfffff, v22
	v_add_co_u32_e32 v4, vcc, v22, v4
	v_add_u32_e32 v33, 6, v48
	v_addc_co_u32_e32 v5, vcc, 0, v5, vcc
	v_cmp_ne_u32_e32 vcc, 0, v33
                                        ; implicit-def: $vgpr31
	s_and_saveexec_b64 s[18:19], vcc
	s_xor_b64 s[18:19], exec, s[18:19]
; %bb.187:                              ;   in Loop: Header=BB2_65 Depth=2
	v_add_u32_e32 v22, 7, v48
	v_cmp_lt_u64_e32 vcc, s[40:41], v[4:5]
	v_cndmask_b32_e32 v31, v33, v22, vcc
	v_cndmask_b32_e64 v22, 0, 1, vcc
	v_lshrrev_b64 v[4:5], v22, v[4:5]
; %bb.188:                              ;   in Loop: Header=BB2_65 Depth=2
	s_andn2_saveexec_b64 s[18:19], s[18:19]
; %bb.189:                              ;   in Loop: Header=BB2_65 Depth=2
	v_bfe_u32 v31, v4, 23, 1
; %bb.190:                              ;   in Loop: Header=BB2_65 Depth=2
	s_or_b64 exec, exec, s[18:19]
	v_lshrrev_b64 v[4:5], 20, v[4:5]
	v_cmp_gt_i32_e32 vcc, 16, v31
	v_cndmask_b32_e32 v5, 0, v5, vcc
	v_cndmask_b32_e32 v4, 7, v4, vcc
	v_cmp_eq_u64_e64 s[18:19], 0, v[4:5]
	v_min_i32_e32 v5, 15, v31
	v_lshlrev_b32_e32 v5, 3, v5
	v_cmp_eq_u32_e32 vcc, 0, v31
	v_and_b32_e32 v5, 0xf8, v5
	v_and_or_b32 v4, v4, 7, v5
	s_and_b64 s[18:19], vcc, s[18:19]
	v_cndmask_b32_e64 v4, v4, 0, s[18:19]
	v_or_b32_e32 v31, v4, v2
.LBB2_191:                              ;   in Loop: Header=BB2_65 Depth=2
	s_or_b64 exec, exec, s[50:51]
.LBB2_192:                              ;   in Loop: Header=BB2_65 Depth=2
	s_or_b64 exec, exec, s[48:49]
                                        ; implicit-def: $vgpr33
                                        ; implicit-def: $vgpr4_vgpr5
.LBB2_193:                              ;   in Loop: Header=BB2_65 Depth=2
	s_andn2_saveexec_b64 s[18:19], s[46:47]
; %bb.194:                              ;   in Loop: Header=BB2_65 Depth=2
	v_or_b32_sdwa v2, v33, s62 dst_sel:DWORD dst_unused:UNUSED_PAD src0_sel:BYTE_3 src1_sel:DWORD
	v_cmp_eq_u64_e32 vcc, 0, v[4:5]
	v_cndmask_b32_e32 v31, v2, v31, vcc
; %bb.195:                              ;   in Loop: Header=BB2_65 Depth=2
	s_or_b64 exec, exec, s[18:19]
	v_cmp_lt_u32_e32 vcc, s64, v42
	v_mov_b32_e32 v4, 0
	s_and_saveexec_b64 s[18:19], vcc
	s_cbranch_execz .LBB2_201
; %bb.196:                              ;   in Loop: Header=BB2_65 Depth=2
	v_lshrrev_b32_e32 v2, 24, v42
	v_cmp_ne_u32_sdwa vcc, v42, s61 src0_sel:BYTE_3 src1_sel:DWORD
	v_bfrev_b32_e32 v4, 1
	s_and_saveexec_b64 s[46:47], vcc
	s_cbranch_execz .LBB2_200
; %bb.197:                              ;   in Loop: Header=BB2_65 Depth=2
	v_bfe_u32 v5, v42, 24, 7
	v_cmp_ne_u32_e32 vcc, s62, v5
	v_mov_b32_e32 v4, 0x7f800001
	s_and_saveexec_b64 s[48:49], vcc
	s_cbranch_execz .LBB2_199
; %bb.198:                              ;   in Loop: Header=BB2_65 Depth=2
	v_and_b32_e32 v4, 7, v2
	v_ffbh_u32_e32 v22, v4
	v_min_u32_e32 v36, 32, v22
	v_subrev_u32_e32 v22, 28, v36
	v_lshlrev_b64 v[22:23], v22, v[2:3]
	v_lshrrev_b32_e32 v33, 3, v5
	v_sub_u32_e32 v2, 29, v36
	v_and_b32_e32 v22, 7, v22
	v_cmp_gt_u32_e32 vcc, 8, v5
	v_cndmask_b32_e32 v2, v33, v2, vcc
	v_cndmask_b32_e32 v4, v4, v22, vcc
	v_lshlrev_b32_sdwa v5, v7, v42 dst_sel:DWORD dst_unused:UNUSED_PAD src0_sel:DWORD src1_sel:BYTE_3
	v_lshlrev_b32_e32 v4, 20, v4
	v_and_b32_e32 v5, 0x80000000, v5
	v_lshl_add_u32 v2, v2, 23, v47
	v_or3_b32 v4, v5, v2, v4
.LBB2_199:                              ;   in Loop: Header=BB2_65 Depth=2
	s_or_b64 exec, exec, s[48:49]
.LBB2_200:                              ;   in Loop: Header=BB2_65 Depth=2
	s_or_b64 exec, exec, s[46:47]
.LBB2_201:                              ;   in Loop: Header=BB2_65 Depth=2
	s_or_b64 exec, exec, s[18:19]
	v_mul_f32_e32 v5, v62, v4
	v_and_b32_sdwa v2, v5, s61 dst_sel:DWORD dst_unused:UNUSED_PAD src0_sel:BYTE_3 src1_sel:DWORD
	v_and_b32_e32 v22, 0x7f800000, v5
	v_mov_b32_e32 v23, v43
	v_and_b32_e32 v42, 0x7fffff, v5
	v_or_b32_e32 v4, 0x7e, v2
	v_cmp_ne_u64_e32 vcc, s[36:37], v[22:23]
	s_and_saveexec_b64 s[18:19], vcc
	s_xor_b64 s[46:47], exec, s[18:19]
	s_cbranch_execz .LBB2_211
; %bb.202:                              ;   in Loop: Header=BB2_65 Depth=2
	v_and_b32_e32 v22, 0x7fffffff, v5
	v_mov_b32_e32 v23, v43
	v_cmp_gt_u64_e32 vcc, s[38:39], v[22:23]
	s_and_saveexec_b64 s[48:49], vcc
	s_cbranch_execz .LBB2_210
; %bb.203:                              ;   in Loop: Header=BB2_65 Depth=2
	v_cmp_ne_u32_e32 vcc, 0, v5
	v_mov_b32_e32 v4, 0
	s_and_saveexec_b64 s[50:51], vcc
	s_cbranch_execz .LBB2_209
; %bb.204:                              ;   in Loop: Header=BB2_65 Depth=2
	v_bfe_u32 v4, v5, 23, 8
	v_sub_u32_e32 v22, 0x79, v4
	v_cmp_gt_u32_e32 vcc, s63, v4
	v_cndmask_b32_e32 v22, 0, v22, vcc
	v_cmp_eq_u32_e32 vcc, 0, v4
	v_or_b32_e32 v23, 0x800000, v42
	v_cndmask_b32_e32 v36, v22, v6, vcc
	v_add_u32_e32 v5, 0xffffff81, v4
	v_cndmask_b32_e32 v42, v23, v42, vcc
	v_add_u32_e32 v4, 20, v36
	v_cndmask_b32_e32 v33, v5, v30, vcc
	v_lshlrev_b64 v[4:5], v4, -1
	v_lshrrev_b64 v[60:61], v36, v[42:43]
	v_not_b32_e32 v5, v5
	v_not_b32_e32 v4, v4
	v_add_u32_e32 v22, 19, v36
	v_lshrrev_b32_e32 v37, 23, v60
	v_and_b32_e32 v5, 0, v5
	v_and_b32_e32 v4, v42, v4
	v_lshlrev_b64 v[22:23], v22, 1
	v_add3_u32 v49, v36, v33, v37
	v_bfe_u32 v33, v60, 20, 1
	v_add_u32_e32 v33, -1, v33
	v_cmp_eq_u64_e32 vcc, v[4:5], v[22:23]
	v_cndmask_b32_e32 v4, 0, v33, vcc
	v_add_u32_e32 v4, v4, v60
	v_and_b32_e32 v4, 0xfffff, v4
	v_add_co_u32_e32 v4, vcc, v4, v60
	v_add_u32_e32 v48, 6, v49
	v_addc_co_u32_e32 v5, vcc, 0, v61, vcc
	v_cmp_ne_u32_e32 vcc, 0, v48
                                        ; implicit-def: $vgpr33
	s_and_saveexec_b64 s[18:19], vcc
	s_xor_b64 s[18:19], exec, s[18:19]
; %bb.205:                              ;   in Loop: Header=BB2_65 Depth=2
	v_add_u32_e32 v22, 7, v49
	v_cmp_lt_u64_e32 vcc, s[40:41], v[4:5]
	v_cndmask_b32_e32 v33, v48, v22, vcc
	v_cndmask_b32_e64 v22, 0, 1, vcc
	v_lshrrev_b64 v[4:5], v22, v[4:5]
; %bb.206:                              ;   in Loop: Header=BB2_65 Depth=2
	s_andn2_saveexec_b64 s[18:19], s[18:19]
; %bb.207:                              ;   in Loop: Header=BB2_65 Depth=2
	v_bfe_u32 v33, v4, 23, 1
; %bb.208:                              ;   in Loop: Header=BB2_65 Depth=2
	s_or_b64 exec, exec, s[18:19]
	v_lshrrev_b64 v[4:5], 20, v[4:5]
	v_cmp_gt_i32_e32 vcc, 16, v33
	v_cndmask_b32_e32 v5, 0, v5, vcc
	v_cndmask_b32_e32 v4, 7, v4, vcc
	v_cmp_eq_u64_e64 s[18:19], 0, v[4:5]
	v_min_i32_e32 v5, 15, v33
	v_lshlrev_b32_e32 v5, 3, v5
	v_cmp_eq_u32_e32 vcc, 0, v33
	v_and_b32_e32 v5, 0xf8, v5
	v_and_or_b32 v4, v4, 7, v5
	s_and_b64 s[18:19], vcc, s[18:19]
	v_cndmask_b32_e64 v4, v4, 0, s[18:19]
	v_or_b32_e32 v4, v4, v2
.LBB2_209:                              ;   in Loop: Header=BB2_65 Depth=2
	s_or_b64 exec, exec, s[50:51]
.LBB2_210:                              ;   in Loop: Header=BB2_65 Depth=2
	s_or_b64 exec, exec, s[48:49]
                                        ; implicit-def: $vgpr5
.LBB2_211:                              ;   in Loop: Header=BB2_65 Depth=2
	s_andn2_saveexec_b64 s[18:19], s[46:47]
	s_cbranch_execz .LBB2_64
; %bb.212:                              ;   in Loop: Header=BB2_65 Depth=2
	v_or_b32_sdwa v2, v5, s62 dst_sel:DWORD dst_unused:UNUSED_PAD src0_sel:BYTE_3 src1_sel:DWORD
	v_cmp_eq_u64_e32 vcc, 0, v[42:43]
	v_cndmask_b32_e32 v4, v2, v4, vcc
	s_branch .LBB2_64
.LBB2_213:                              ;   in Loop: Header=BB2_27 Depth=1
	s_or_b64 exec, exec, s[44:45]
	v_accvgpr_read_b32 v8, a44
	v_accvgpr_read_b32 v9, a45
.LBB2_214:                              ;   in Loop: Header=BB2_27 Depth=1
	s_or_b64 exec, exec, s[42:43]
	v_and_b32_e32 v42, 0x7ffffff8, v16
	v_cmp_eq_u64_e32 vcc, s[34:35], v[42:43]
	v_cmp_gt_i32_e64 s[18:19], s58, v0
	s_and_b64 s[18:19], vcc, s[18:19]
	s_and_saveexec_b64 s[42:43], s[18:19]
	s_cbranch_execz .LBB2_217
; %bb.215:                              ;   in Loop: Header=BB2_27 Depth=1
	v_mul_lo_u32 v4, v1, s58
	v_mov_b32_e32 v1, v16
	s_waitcnt vmcnt(0) lgkmcnt(0)
	v_add_co_u32_e64 v2, vcc, 0, 0
	v_ashrrev_i32_e32 v5, 31, v4
	v_addc_co_u32_e32 v3, vcc, 1, v1, vcc
	v_ashrrev_i32_e32 v1, 31, v0
	v_lshlrev_b64 v[8:9], 4, v[0:1]
	v_lshlrev_b64 v[4:5], 4, v[4:5]
	v_add_co_u32_e32 v1, vcc, v8, v4
	v_addc_co_u32_e32 v4, vcc, v9, v5, vcc
	v_accvgpr_read_b32 v8, a20
	v_accvgpr_read_b32 v9, a21
	v_add_co_u32_e32 v10, vcc, v8, v1
	v_addc_co_u32_e32 v11, vcc, v9, v4, vcc
	v_accvgpr_read_b32 v8, a44
	v_accvgpr_read_b32 v9, a45
	s_mov_b64 s[44:45], 0
.LBB2_216:                              ;   Parent Loop BB2_27 Depth=1
                                        ; =>  This Inner Loop Header: Depth=2
	v_mov_b32_e32 v4, v2
	v_mov_b32_e32 v5, v3
	v_add_u32_e32 v0, v0, v20
	global_store_dwordx4 v[10:11], v[2:5], off
	v_cmp_le_i32_e32 vcc, s58, v0
	v_add_co_u32_e64 v10, s[18:19], v10, v58
	s_or_b64 s[44:45], vcc, s[44:45]
	v_addc_co_u32_e64 v11, vcc, v11, v59, s[18:19]
	s_andn2_b64 exec, exec, s[44:45]
	s_cbranch_execnz .LBB2_216
.LBB2_217:                              ;   in Loop: Header=BB2_27 Depth=1
	s_or_b64 exec, exec, s[42:43]
	v_accvgpr_read_b32 v0, a8
	v_accvgpr_read_b32 v1, a9
	v_add_co_u32_e32 v4, vcc, v8, v0
	v_addc_co_u32_e32 v5, vcc, v9, v1, vcc
	v_add_co_u32_e64 v28, s[18:19], 1, v16
	s_andn2_b64 vcc, exec, s[30:31]
	v_addc_co_u32_e64 v29, s[18:19], 0, v17, s[18:19]
	s_cbranch_vccnz .LBB2_635
; %bb.218:                              ;   in Loop: Header=BB2_27 Depth=1
	v_accvgpr_read_b32 v0, a35
	s_waitcnt vmcnt(0) lgkmcnt(0)
	v_add_co_u32_e32 v2, vcc, v0, v4
	v_accvgpr_read_b32 v0, a36
	v_addc_co_u32_e32 v3, vcc, v0, v5, vcc
	v_accvgpr_write_b32 a51, v3
	v_accvgpr_write_b32 a47, v4
	;; [unrolled: 1-line block ×4, first 2 shown]
	v_add_u16_e32 v41, 1, v16
	s_mov_b32 s70, 2
	s_branch .LBB2_220
.LBB2_219:                              ;   in Loop: Header=BB2_220 Depth=2
	s_or_b64 exec, exec, s[42:43]
	v_add_co_u32_e32 v34, vcc, 1, v34
	v_addc_co_u32_e32 v35, vcc, 0, v35, vcc
	s_add_i32 s70, s70, 1
	v_add_co_u32_e32 v28, vcc, 1, v28
	v_addc_co_u32_e32 v29, vcc, 0, v29, vcc
	s_cmp_eq_u32 s70, s20
	v_add_u16_e32 v41, 1, v41
	s_cbranch_scc1 .LBB2_636
.LBB2_220:                              ;   Parent Loop BB2_27 Depth=1
                                        ; =>  This Loop Header: Depth=2
                                        ;       Child Loop BB2_235 Depth 3
                                        ;       Child Loop BB2_251 Depth 3
	;; [unrolled: 1-line block ×3, first 2 shown]
                                        ;         Child Loop BB2_272 Depth 4
                                        ;       Child Loop BB2_624 Depth 3
                                        ;       Child Loop BB2_228 Depth 3
	s_sub_i32 s18, s20, s70
	s_ashr_i32 s19, s18, 31
	s_lshl_b64 s[18:19], s[18:19], 2
	s_waitcnt vmcnt(0) lgkmcnt(0)
	v_accvgpr_read_b32 v2, a6
	v_mov_b32_e32 v1, s19
	v_accvgpr_read_b32 v3, a7
	v_add_co_u32_e32 v0, vcc, s18, v2
	v_addc_co_u32_e32 v1, vcc, v3, v1, vcc
	flat_load_dword v2, v[0:1]
	s_and_saveexec_b64 s[18:19], s[6:7]
	s_cbranch_execnz .LBB2_229
; %bb.221:                              ;   in Loop: Header=BB2_220 Depth=2
	s_or_b64 exec, exec, s[18:19]
	s_and_saveexec_b64 s[18:19], s[10:11]
	s_cbranch_execnz .LBB2_244
.LBB2_222:                              ;   in Loop: Header=BB2_220 Depth=2
	s_or_b64 exec, exec, s[18:19]
	v_accvgpr_read_b32 v0, a2
	s_and_saveexec_b64 s[42:43], s[16:17]
	s_cbranch_execnz .LBB2_262
.LBB2_223:                              ;   in Loop: Header=BB2_220 Depth=2
	s_or_b64 exec, exec, s[42:43]
	s_and_saveexec_b64 s[18:19], s[10:11]
	s_cbranch_execnz .LBB2_617
.LBB2_224:                              ;   in Loop: Header=BB2_220 Depth=2
	s_or_b64 exec, exec, s[18:19]
	s_and_saveexec_b64 s[18:19], s[14:15]
	s_cbranch_execz .LBB2_226
.LBB2_225:                              ;   in Loop: Header=BB2_220 Depth=2
	s_waitcnt vmcnt(0) lgkmcnt(0)
	v_accvgpr_read_b32 v2, a22
	v_accvgpr_read_b32 v3, a23
	v_add_co_u32_e32 v2, vcc, 1, v2
	v_addc_co_u32_e32 v3, vcc, 0, v3, vcc
	v_accvgpr_write_b32 a23, v3
	v_accvgpr_read_b32 v4, a24
	v_accvgpr_write_b32 a22, v2
	v_accvgpr_read_b32 v5, a25
	flat_store_dwordx2 v[4:5], v[2:3]
.LBB2_226:                              ;   in Loop: Header=BB2_220 Depth=2
	s_or_b64 exec, exec, s[18:19]
	v_and_b32_e32 v42, 0x7ffffff8, v28
	v_cmp_eq_u64_e32 vcc, s[34:35], v[42:43]
	v_cmp_gt_i32_e64 s[18:19], s58, v0
	s_and_b64 s[18:19], vcc, s[18:19]
	s_and_saveexec_b64 s[42:43], s[18:19]
	s_cbranch_execz .LBB2_219
; %bb.227:                              ;   in Loop: Header=BB2_220 Depth=2
	v_and_b32_e32 v1, 7, v41
	s_waitcnt vmcnt(0) lgkmcnt(0)
	v_mul_lo_u32 v2, s58, v1
	v_ashrrev_i32_e32 v3, 31, v2
	v_lshlrev_b64 v[4:5], 4, v[2:3]
	v_mov_b32_e32 v1, v28
	v_add_co_u32_e64 v2, vcc, 0, 0
	v_addc_co_u32_e32 v3, vcc, 1, v1, vcc
	v_ashrrev_i32_e32 v1, 31, v0
	v_lshlrev_b64 v[8:9], 4, v[0:1]
	v_add_co_u32_e32 v1, vcc, v8, v4
	v_addc_co_u32_e32 v4, vcc, v9, v5, vcc
	v_accvgpr_read_b32 v8, a20
	v_accvgpr_read_b32 v9, a21
	v_add_co_u32_e32 v10, vcc, v8, v1
	v_addc_co_u32_e32 v11, vcc, v9, v4, vcc
	v_accvgpr_read_b32 v8, a44
	v_accvgpr_read_b32 v9, a45
	s_mov_b64 s[44:45], 0
.LBB2_228:                              ;   Parent Loop BB2_27 Depth=1
                                        ;     Parent Loop BB2_220 Depth=2
                                        ; =>    This Inner Loop Header: Depth=3
	v_mov_b32_e32 v4, v2
	v_mov_b32_e32 v5, v3
	v_add_u32_e32 v0, v0, v20
	global_store_dwordx4 v[10:11], v[2:5], off
	v_cmp_le_i32_e32 vcc, s58, v0
	v_add_co_u32_e64 v10, s[18:19], v10, v58
	s_or_b64 s[44:45], vcc, s[44:45]
	v_addc_co_u32_e64 v11, vcc, v11, v59, s[18:19]
	s_andn2_b64 exec, exec, s[44:45]
	s_cbranch_execnz .LBB2_228
	s_branch .LBB2_219
.LBB2_229:                              ;   in Loop: Header=BB2_220 Depth=2
	v_add_co_u32_e32 v0, vcc, 1, v14
	v_addc_co_u32_e32 v1, vcc, 0, v15, vcc
	v_add_co_u32_e32 v4, vcc, 8, v52
	v_addc_co_u32_e32 v5, vcc, 0, v53, vcc
	v_cmp_lt_u64_e32 vcc, v[4:5], v[0:1]
	s_and_saveexec_b64 s[42:43], vcc
	s_cbranch_execz .LBB2_241
; %bb.230:                              ;   in Loop: Header=BB2_220 Depth=2
	v_accvgpr_read_b32 v4, a26
	v_accvgpr_read_b32 v5, a27
	s_sleep 1
	flat_load_dwordx2 v[52:53], v[4:5] glc
	v_cmp_eq_u32_e32 vcc, 0, v40
	s_and_saveexec_b64 s[44:45], vcc
	s_cbranch_execz .LBB2_240
; %bb.231:                              ;   in Loop: Header=BB2_220 Depth=2
	v_cndmask_b32_e64 v3, 0, 1, vcc
	s_mov_b64 s[46:47], 0
                                        ; implicit-def: $sgpr48_sgpr49
	s_branch .LBB2_235
.LBB2_232:                              ;   in Loop: Header=BB2_235 Depth=3
	s_or_b64 exec, exec, s[56:57]
	s_orn2_b64 s[54:55], s[54:55], exec
.LBB2_233:                              ;   in Loop: Header=BB2_235 Depth=3
	s_or_b64 exec, exec, s[52:53]
	s_xor_b64 vcc, s[54:55], -1
	s_andn2_b64 s[48:49], s[48:49], exec
	s_and_b64 vcc, vcc, exec
	s_or_b64 s[48:49], s[48:49], vcc
.LBB2_234:                              ;   in Loop: Header=BB2_235 Depth=3
	s_or_b64 exec, exec, s[50:51]
	s_and_b64 vcc, exec, s[48:49]
	s_or_b64 s[46:47], vcc, s[46:47]
	s_andn2_b64 exec, exec, s[46:47]
	s_cbranch_execz .LBB2_239
.LBB2_235:                              ;   Parent Loop BB2_27 Depth=1
                                        ;     Parent Loop BB2_220 Depth=2
                                        ; =>    This Inner Loop Header: Depth=3
	s_waitcnt vmcnt(0) lgkmcnt(0)
	v_add_co_u32_e32 v4, vcc, 8, v52
	v_addc_co_u32_e32 v5, vcc, 0, v53, vcc
	v_cmp_lt_u64_e32 vcc, v[4:5], v[0:1]
	v_mov_b32_e32 v40, 0
	s_or_b64 s[48:49], s[48:49], exec
	s_and_saveexec_b64 s[50:51], vcc
	s_cbranch_execz .LBB2_234
; %bb.236:                              ;   in Loop: Header=BB2_235 Depth=3
	v_accvgpr_read_b32 v4, a26
	v_accvgpr_read_b32 v5, a27
	s_sleep 1
	flat_load_dwordx2 v[52:53], v[4:5] glc
	v_add_u32_e32 v3, 1, v3
	v_cmp_eq_u32_e32 vcc, s59, v3
	s_mov_b64 s[54:55], -1
	v_mov_b32_e32 v40, 0
	s_and_saveexec_b64 s[52:53], vcc
	s_cbranch_execz .LBB2_233
; %bb.237:                              ;   in Loop: Header=BB2_235 Depth=3
	s_trap 2
	ds_read_b64 v[4:5], v0
	v_mov_b32_e32 v3, 0
	v_mov_b32_e32 v40, 0
	s_waitcnt vmcnt(0) lgkmcnt(0)
	flat_load_dword v4, v[4:5] glc
	s_waitcnt vmcnt(0) lgkmcnt(0)
	buffer_invl2
	buffer_wbinvl1_vol
	v_cmp_ne_u32_e32 vcc, 0, v4
	s_and_saveexec_b64 s[56:57], vcc
	s_cbranch_execz .LBB2_232
; %bb.238:                              ;   in Loop: Header=BB2_235 Depth=3
	v_mov_b32_e32 v40, 1
	s_xor_b64 s[54:55], exec, -1
	ds_write_b32 v0, v4
	s_trap 2
	s_branch .LBB2_232
.LBB2_239:                              ;   in Loop: Header=BB2_220 Depth=2
	s_or_b64 exec, exec, s[46:47]
.LBB2_240:                              ;   in Loop: Header=BB2_220 Depth=2
	s_or_b64 exec, exec, s[44:45]
.LBB2_241:                              ;   in Loop: Header=BB2_220 Depth=2
	s_or_b64 exec, exec, s[42:43]
	s_and_saveexec_b64 s[42:43], s[8:9]
	s_cbranch_execz .LBB2_243
; %bb.242:                              ;   in Loop: Header=BB2_220 Depth=2
	v_and_b32_e32 v42, 0x7ffffff8, v14
	v_mov_b32_e32 v3, s21
	v_cmp_eq_u64_e32 vcc, s[34:35], v[42:43]
	v_accvgpr_read_b32 v4, a46
	v_cndmask_b32_e32 v4, v4, v3, vcc
	v_and_b32_e32 v3, 7, v14
	v_ashrrev_i32_e32 v5, 31, v4
	v_mad_u64_u32 v[8:9], vcc, v3, 24, v[12:13]
	flat_store_dwordx2 v[8:9], v[4:5] offset:8
	s_waitcnt vmcnt(0)
	v_accvgpr_read_b32 v8, a44
	v_accvgpr_read_b32 v9, a45
.LBB2_243:                              ;   in Loop: Header=BB2_220 Depth=2
	s_or_b64 exec, exec, s[42:43]
	v_pk_mov_b32 v[14:15], v[0:1], v[0:1] op_sel:[0,1]
	s_or_b64 exec, exec, s[18:19]
	s_and_saveexec_b64 s[18:19], s[10:11]
	s_cbranch_execz .LBB2_222
.LBB2_244:                              ;   in Loop: Header=BB2_220 Depth=2
	s_and_saveexec_b64 vcc, s[28:29]
	s_xor_b64 s[42:43], exec, vcc
	s_cbranch_execz .LBB2_259
; %bb.245:                              ;   in Loop: Header=BB2_220 Depth=2
	s_and_saveexec_b64 s[44:45], s[12:13]
	s_cbranch_execz .LBB2_258
; %bb.246:                              ;   in Loop: Header=BB2_220 Depth=2
	s_mov_b64 s[48:49], exec
	v_mbcnt_lo_u32_b32 v0, s48, 0
	v_mbcnt_hi_u32_b32 v0, s49, v0
	v_cmp_eq_u32_e32 vcc, 0, v0
	s_waitcnt vmcnt(0) lgkmcnt(0)
	buffer_wbinvl1_vol
	s_and_saveexec_b64 s[46:47], vcc
	s_cbranch_execz .LBB2_248
; %bb.247:                              ;   in Loop: Header=BB2_220 Depth=2
	s_bcnt1_i32_b64 vcc_lo, s[48:49]
	v_mov_b32_e32 v42, vcc_lo
	ds_add_u64 v0, v[42:43]
	s_trap 2
.LBB2_248:                              ;   in Loop: Header=BB2_220 Depth=2
	s_or_b64 exec, exec, s[46:47]
	s_trap 2
	ds_read_b64 v[0:1], v0
	v_accvgpr_read_b32 v4, a32
	v_add_co_u32_e32 v54, vcc, v54, v4
	v_accvgpr_read_b32 v3, a29
	v_addc_co_u32_e32 v55, vcc, v55, v3, vcc
	s_waitcnt lgkmcnt(0)
	v_cmp_lt_u64_e32 vcc, v[0:1], v[54:55]
	s_and_saveexec_b64 s[46:47], vcc
	s_cbranch_execz .LBB2_257
; %bb.249:                              ;   in Loop: Header=BB2_220 Depth=2
	s_mov_b32 s71, 0
	s_mov_b64 s[48:49], 0
                                        ; implicit-def: $sgpr50_sgpr51
                                        ; implicit-def: $sgpr52_sgpr53
	s_branch .LBB2_251
.LBB2_250:                              ;   in Loop: Header=BB2_251 Depth=3
	s_or_b64 exec, exec, s[56:57]
	s_and_b64 vcc, exec, vcc
	s_or_b64 s[48:49], vcc, s[48:49]
	s_andn2_b64 vcc, s[50:51], exec
	s_and_b64 s[50:51], s[52:53], exec
	s_or_b64 s[50:51], vcc, s[50:51]
	s_andn2_b64 exec, exec, s[48:49]
	s_cbranch_execz .LBB2_255
.LBB2_251:                              ;   Parent Loop BB2_27 Depth=1
                                        ;     Parent Loop BB2_220 Depth=2
                                        ; =>    This Inner Loop Header: Depth=3
	s_add_i32 s71, s71, 1
	s_cmpk_lg_i32 s71, 0x2710
	s_cselect_b64 s[54:55], -1, 0
	s_and_b64 vcc, exec, s[54:55]
                                        ; implicit-def: $sgpr56_sgpr57
	s_cbranch_vccnz .LBB2_253
; %bb.252:                              ;   in Loop: Header=BB2_251 Depth=3
	s_trap 2
	ds_read_b64 v[0:1], v0
	s_andn2_b64 s[54:55], s[54:55], exec
	s_mov_b32 s71, 0
	s_mov_b64 s[56:57], -1
	s_waitcnt lgkmcnt(0)
	flat_load_dword v0, v[0:1] glc
	s_waitcnt vmcnt(0) lgkmcnt(0)
	buffer_invl2
	buffer_wbinvl1_vol
	v_cmp_eq_u32_e32 vcc, 0, v0
	s_and_b64 vcc, vcc, exec
	s_or_b64 s[54:55], s[54:55], vcc
.LBB2_253:                              ;   in Loop: Header=BB2_251 Depth=3
	s_andn2_b64 s[52:53], s[52:53], exec
	s_and_b64 s[56:57], s[56:57], exec
	s_mov_b64 vcc, -1
	s_or_b64 s[52:53], s[52:53], s[56:57]
	s_and_saveexec_b64 s[56:57], s[54:55]
	s_cbranch_execz .LBB2_250
; %bb.254:                              ;   in Loop: Header=BB2_251 Depth=3
	s_sleep 1
	s_trap 2
	ds_read_b64 v[0:1], v0
	s_andn2_b64 s[52:53], s[52:53], exec
	s_waitcnt lgkmcnt(0)
	v_cmp_ge_u64_e32 vcc, v[0:1], v[54:55]
	s_orn2_b64 vcc, vcc, exec
	s_branch .LBB2_250
.LBB2_255:                              ;   in Loop: Header=BB2_220 Depth=2
	s_or_b64 exec, exec, s[48:49]
	s_and_saveexec_b64 vcc, s[50:51]
	s_xor_b64 vcc, exec, vcc
	s_cbranch_execz .LBB2_257
; %bb.256:                              ;   in Loop: Header=BB2_220 Depth=2
	v_mov_b32_e32 v0, 1
	ds_write_b32 v0, v0
	s_trap 2
.LBB2_257:                              ;   in Loop: Header=BB2_220 Depth=2
	s_or_b64 exec, exec, s[46:47]
	;;#ASMSTART
	s_wakeup
	;;#ASMEND
.LBB2_258:                              ;   in Loop: Header=BB2_220 Depth=2
	s_or_b64 exec, exec, s[44:45]
.LBB2_259:                              ;   in Loop: Header=BB2_220 Depth=2
	s_andn2_saveexec_b64 vcc, s[42:43]
	s_cbranch_execz .LBB2_261
; %bb.260:                              ;   in Loop: Header=BB2_220 Depth=2
	s_waitcnt vmcnt(0) lgkmcnt(0)
	buffer_wbinvl1_vol
	s_barrier
.LBB2_261:                              ;   in Loop: Header=BB2_220 Depth=2
	s_or_b64 exec, exec, vcc
	s_or_b64 exec, exec, s[18:19]
	v_accvgpr_read_b32 v0, a2
	s_and_saveexec_b64 s[42:43], s[16:17]
	s_cbranch_execz .LBB2_223
.LBB2_262:                              ;   in Loop: Header=BB2_220 Depth=2
	v_accvgpr_read_b32 v4, a50
	s_waitcnt vmcnt(0) lgkmcnt(0)
	v_ashrrev_i32_e32 v0, 31, v2
	v_accvgpr_read_b32 v3, a3
	v_accvgpr_read_b32 v5, a51
	;; [unrolled: 1-line block ×3, first 2 shown]
	v_mad_u64_u32 v[10:11], s[18:19], v3, v2, v[4:5]
	v_mul_lo_u32 v1, v1, v2
	v_mul_lo_u32 v0, v3, v0
	v_add3_u32 v11, v1, v11, v0
	v_and_b32_e32 v0, 7, v34
	v_mul_lo_u32 v0, v0, s58
	v_ashrrev_i32_e32 v1, 31, v0
	v_lshlrev_b64 v[0:1], 4, v[0:1]
	v_accvgpr_read_b32 v2, a18
	v_add_co_u32_e32 v46, vcc, v2, v0
	v_and_b32_e32 v0, 7, v28
	v_accvgpr_read_b32 v3, a19
	v_mul_lo_u32 v0, v0, s58
	v_addc_co_u32_e32 v48, vcc, v3, v1, vcc
	v_ashrrev_i32_e32 v1, 31, v0
	v_lshlrev_b64 v[0:1], 4, v[0:1]
	v_accvgpr_read_b32 v2, a20
	v_accvgpr_read_b32 v3, a21
	v_add_co_u32_e32 v57, vcc, v2, v0
	v_addc_co_u32_e32 v8, vcc, v3, v1, vcc
	v_mov_b32_e32 v1, v28
	v_add_co_u32_e64 v9, vcc, 0, 0
	v_add_u32_e32 v49, 1, v34
	v_addc_co_u32_e32 v3, vcc, 1, v1, vcc
	s_mov_b64 s[44:45], 0
	v_mov_b32_e32 v21, v32
	v_accvgpr_read_b32 v0, a2
	s_branch .LBB2_264
.LBB2_263:                              ;   in Loop: Header=BB2_264 Depth=3
	s_or_b64 exec, exec, s[18:19]
	v_lshlrev_b32_e32 v17, 8, v61
	v_add_co_u32_e32 v10, vcc, v10, v56
	v_perm_b32 v1, v17, v1, s65
	v_lshlrev_b32_e32 v17, 8, v26
	v_addc_co_u32_e32 v11, vcc, v11, v45, vcc
	v_lshlrev_b32_e32 v18, 24, v16
	v_perm_b32 v16, v17, v19, s65
	v_and_b32_e32 v2, 0xff, v24
	v_lshl_or_b32 v19, v27, 16, v16
	v_add_co_u32_e32 v16, vcc, v57, v4
	v_lshlrev_b32_e32 v2, 16, v2
	v_addc_co_u32_e32 v17, vcc, v8, v5, vcc
	v_sub_u32_e32 v21, v21, v56
	v_lshl_or_b32 v2, v25, 24, v2
	v_cmp_gt_i32_e32 vcc, 1, v21
	v_or3_b32 v2, v2, v1, v9
	v_or3_b32 v4, v18, v19, v9
	v_mov_b32_e32 v5, v3
	s_or_b64 s[44:45], vcc, s[44:45]
	v_add_u32_e32 v0, v0, v20
	global_store_dwordx4 v[16:17], v[2:5], off
	s_andn2_b64 exec, exec, s[44:45]
	s_cbranch_execz .LBB2_616
.LBB2_264:                              ;   Parent Loop BB2_27 Depth=1
                                        ;     Parent Loop BB2_220 Depth=2
                                        ; =>    This Loop Header: Depth=3
                                        ;         Child Loop BB2_272 Depth 4
	v_and_b32_e32 v4, -4, v10
	v_mov_b32_e32 v5, v11
	global_load_dword v2, v[4:5], off glc slc
	v_min_u32_e32 v1, 8, v21
	v_and_b32_e32 v16, 3, v10
	v_add_co_u32_e32 v16, vcc, v16, v1
	v_addc_co_u32_e64 v17, s[18:19], 0, 0, vcc
	v_mov_b32_e32 v26, 0
	v_cmp_lt_u64_e32 vcc, 4, v[16:17]
	v_mov_b32_e32 v27, 0
	s_and_saveexec_b64 s[18:19], vcc
	s_cbranch_execz .LBB2_266
; %bb.265:                              ;   in Loop: Header=BB2_264 Depth=3
	global_load_dword v27, v[4:5], off offset:4 glc slc
.LBB2_266:                              ;   in Loop: Header=BB2_264 Depth=3
	s_or_b64 exec, exec, s[18:19]
	v_cmp_lt_u64_e32 vcc, 8, v[16:17]
	s_and_saveexec_b64 s[18:19], vcc
	s_cbranch_execz .LBB2_268
; %bb.267:                              ;   in Loop: Header=BB2_264 Depth=3
	global_load_dword v26, v[4:5], off offset:8 glc slc
.LBB2_268:                              ;   in Loop: Header=BB2_264 Depth=3
	s_or_b64 exec, exec, s[18:19]
	v_ashrrev_i32_e32 v1, 31, v0
	v_lshlrev_b64 v[4:5], 4, v[0:1]
	v_add_co_u32_e32 v24, vcc, v46, v4
	v_addc_co_u32_e32 v25, vcc, v48, v5, vcc
	global_load_dwordx4 v[16:19], v[24:25], off glc slc
	v_cmp_eq_u32_e32 vcc, 0, v40
	s_and_saveexec_b64 s[46:47], vcc
	s_cbranch_execz .LBB2_280
; %bb.269:                              ;   in Loop: Header=BB2_264 Depth=3
	s_waitcnt vmcnt(0)
	v_cmp_ne_u32_e32 vcc, v49, v17
	v_cmp_ne_u32_e64 s[18:19], v49, v19
	s_or_b64 s[18:19], vcc, s[18:19]
	v_mov_b32_e32 v40, 0
	s_and_saveexec_b64 s[48:49], s[18:19]
	s_cbranch_execz .LBB2_279
; %bb.270:                              ;   in Loop: Header=BB2_264 Depth=3
	s_mov_b32 s54, 1
	s_mov_b64 s[50:51], 0
	v_mov_b32_e32 v40, 0
	s_branch .LBB2_272
.LBB2_271:                              ;   in Loop: Header=BB2_272 Depth=4
	s_or_b64 exec, exec, s[52:53]
	s_and_b64 s[18:19], exec, s[18:19]
	s_or_b64 s[50:51], s[18:19], s[50:51]
	s_andn2_b64 exec, exec, s[50:51]
	s_cbranch_execz .LBB2_278
.LBB2_272:                              ;   Parent Loop BB2_27 Depth=1
                                        ;     Parent Loop BB2_220 Depth=2
                                        ;       Parent Loop BB2_264 Depth=3
                                        ; =>      This Inner Loop Header: Depth=4
	global_load_dwordx4 v[16:19], v[24:25], off glc slc
	s_add_i32 s54, s54, 1
	s_cmpk_lg_i32 s54, 0x2710
	s_cbranch_scc1 .LBB2_276
; %bb.273:                              ;   in Loop: Header=BB2_272 Depth=4
	s_trap 2
	ds_read_b64 v[22:23], v0
	s_waitcnt vmcnt(0) lgkmcnt(0)
	flat_load_dword v1, v[22:23] glc
	s_waitcnt vmcnt(0) lgkmcnt(0)
	buffer_invl2
	buffer_wbinvl1_vol
	v_cmp_ne_u32_e32 vcc, 0, v1
	s_and_saveexec_b64 s[18:19], vcc
	s_cbranch_execz .LBB2_275
; %bb.274:                              ;   in Loop: Header=BB2_272 Depth=4
	v_mov_b32_e32 v40, 1
	ds_write_b32 v0, v1
	s_trap 2
.LBB2_275:                              ;   in Loop: Header=BB2_272 Depth=4
	s_or_b64 exec, exec, s[18:19]
	s_mov_b32 s54, 0
	v_mov_b32_e32 v1, v40
	v_cmp_eq_u32_e32 vcc, 0, v1
	s_mov_b64 s[18:19], -1
	s_and_saveexec_b64 s[52:53], vcc
	s_cbranch_execz .LBB2_271
	s_branch .LBB2_277
.LBB2_276:                              ;   in Loop: Header=BB2_272 Depth=4
	v_mov_b32_e32 v1, 0
	v_cmp_eq_u32_e32 vcc, 0, v1
	s_mov_b64 s[18:19], -1
	s_and_saveexec_b64 s[52:53], vcc
	s_cbranch_execz .LBB2_271
.LBB2_277:                              ;   in Loop: Header=BB2_272 Depth=4
	s_waitcnt vmcnt(0)
	v_cmp_eq_u32_e32 vcc, v49, v17
	v_cmp_eq_u32_e64 s[18:19], v49, v19
	s_and_b64 s[18:19], vcc, s[18:19]
	s_orn2_b64 s[18:19], s[18:19], exec
	s_branch .LBB2_271
.LBB2_278:                              ;   in Loop: Header=BB2_264 Depth=3
	s_or_b64 exec, exec, s[50:51]
.LBB2_279:                              ;   in Loop: Header=BB2_264 Depth=3
	s_or_b64 exec, exec, s[48:49]
.LBB2_280:                              ;   in Loop: Header=BB2_264 Depth=3
	s_or_b64 exec, exec, s[46:47]
	v_lshlrev_b32_e32 v31, 3, v10
	s_waitcnt vmcnt(1)
	v_alignbit_b32 v42, v27, v2, v31
	v_cmp_ne_u16_sdwa vcc, v42, v43 src0_sel:BYTE_0 src1_sel:DWORD
	v_mov_b32_e32 v1, 0
	s_and_saveexec_b64 s[18:19], vcc
	s_cbranch_execz .LBB2_286
; %bb.281:                              ;   in Loop: Header=BB2_264 Depth=3
	v_cmp_ne_u16_sdwa vcc, v42, s61 src0_sel:BYTE_0 src1_sel:DWORD
	v_bfrev_b32_e32 v1, 1
	s_and_saveexec_b64 s[46:47], vcc
	s_cbranch_execz .LBB2_285
; %bb.282:                              ;   in Loop: Header=BB2_264 Depth=3
	v_and_b32_e32 v2, 0x7f, v42
	v_cmp_ne_u32_e32 vcc, s62, v2
	v_mov_b32_e32 v1, 0x7f800001
	s_and_saveexec_b64 s[48:49], vcc
	s_cbranch_execz .LBB2_284
; %bb.283:                              ;   in Loop: Header=BB2_264 Depth=3
	v_and_b32_e32 v1, 7, v42
	v_ffbh_u32_e32 v1, v1
	v_min_u32_e32 v1, 32, v1
	v_subrev_u32_e32 v23, 28, v1
	v_cmp_gt_u32_e32 vcc, 8, v2
	v_lshrrev_b32_e32 v22, 3, v2
	v_sub_u32_e32 v1, 29, v1
	v_cndmask_b32_e32 v2, 0, v23, vcc
	v_cndmask_b32_e32 v1, v22, v1, vcc
	v_lshlrev_b64 v[22:23], v2, v[42:43]
	v_lshlrev_b32_e32 v2, 20, v22
	v_lshlrev_b32_e32 v22, 24, v42
	v_and_b32_e32 v2, 0x700000, v2
	v_and_b32_e32 v22, 0x80000000, v22
	v_lshl_add_u32 v1, v1, 23, v47
	v_or3_b32 v1, v22, v1, v2
.LBB2_284:                              ;   in Loop: Header=BB2_264 Depth=3
	s_or_b64 exec, exec, s[48:49]
.LBB2_285:                              ;   in Loop: Header=BB2_264 Depth=3
	s_or_b64 exec, exec, s[46:47]
.LBB2_286:                              ;   in Loop: Header=BB2_264 Depth=3
	s_or_b64 exec, exec, s[18:19]
	v_mul_f32_e32 v33, v62, v1
	v_and_b32_sdwa v2, v33, s61 dst_sel:DWORD dst_unused:UNUSED_PAD src0_sel:BYTE_3 src1_sel:DWORD
	v_and_b32_e32 v22, 0x7f800000, v33
	v_mov_b32_e32 v23, v43
	v_and_b32_e32 v24, 0x7fffff, v33
	v_mov_b32_e32 v25, v43
	v_or_b32_e32 v1, 0x7e, v2
	v_cmp_ne_u64_e32 vcc, s[36:37], v[22:23]
	s_and_saveexec_b64 s[18:19], vcc
	s_xor_b64 s[46:47], exec, s[18:19]
	s_cbranch_execz .LBB2_296
; %bb.287:                              ;   in Loop: Header=BB2_264 Depth=3
	v_and_b32_e32 v22, 0x7fffffff, v33
	v_mov_b32_e32 v23, v43
	v_cmp_gt_u64_e32 vcc, s[38:39], v[22:23]
	s_and_saveexec_b64 s[48:49], vcc
	s_cbranch_execz .LBB2_295
; %bb.288:                              ;   in Loop: Header=BB2_264 Depth=3
	v_cmp_ne_u32_e32 vcc, 0, v33
	v_mov_b32_e32 v1, 0
	s_and_saveexec_b64 s[50:51], vcc
	s_cbranch_execz .LBB2_294
; %bb.289:                              ;   in Loop: Header=BB2_264 Depth=3
	v_bfe_u32 v1, v33, 23, 8
	v_sub_u32_e32 v23, 0x79, v1
	v_cmp_gt_u32_e32 vcc, s63, v1
	v_cndmask_b32_e32 v23, 0, v23, vcc
	v_cmp_eq_u32_e32 vcc, 0, v1
	v_add_u32_e32 v22, 0xffffff81, v1
	v_cndmask_b32_e32 v36, v23, v6, vcc
	v_cndmask_b32_e32 v1, v22, v30, vcc
	v_add_u32_e32 v22, 20, v36
	v_or_b32_e32 v33, 0x800000, v24
	v_lshlrev_b64 v[22:23], v22, -1
	v_cndmask_b32_e32 v24, v33, v24, vcc
	v_not_b32_e32 v22, v22
	v_and_b32_e32 v22, v24, v22
	v_add_u32_e32 v33, 19, v36
	v_lshrrev_b64 v[24:25], v36, v[24:25]
	v_not_b32_e32 v23, v23
	v_lshlrev_b64 v[60:61], v33, 1
	v_lshrrev_b32_e32 v33, 23, v24
	v_and_b32_e32 v23, 0, v23
	v_add3_u32 v44, v36, v1, v33
	v_bfe_u32 v1, v24, 20, 1
	v_add_u32_e32 v1, -1, v1
	v_cmp_eq_u64_e32 vcc, v[22:23], v[60:61]
	v_cndmask_b32_e32 v1, 0, v1, vcc
	v_add_u32_e32 v1, v1, v24
	v_and_b32_e32 v1, 0xfffff, v1
	v_add_co_u32_e32 v24, vcc, v1, v24
	v_add_u32_e32 v33, 6, v44
	v_addc_co_u32_e32 v25, vcc, 0, v25, vcc
	v_cmp_ne_u32_e32 vcc, 0, v33
                                        ; implicit-def: $vgpr1
	s_and_saveexec_b64 s[18:19], vcc
	s_xor_b64 s[18:19], exec, s[18:19]
; %bb.290:                              ;   in Loop: Header=BB2_264 Depth=3
	v_cmp_lt_u64_e32 vcc, s[40:41], v[24:25]
	v_add_u32_e32 v1, 7, v44
	v_cndmask_b32_e64 v22, 0, 1, vcc
	v_cndmask_b32_e32 v1, v33, v1, vcc
	v_lshrrev_b64 v[24:25], v22, v[24:25]
; %bb.291:                              ;   in Loop: Header=BB2_264 Depth=3
	s_andn2_saveexec_b64 s[18:19], s[18:19]
; %bb.292:                              ;   in Loop: Header=BB2_264 Depth=3
	v_bfe_u32 v1, v24, 23, 1
; %bb.293:                              ;   in Loop: Header=BB2_264 Depth=3
	s_or_b64 exec, exec, s[18:19]
	v_lshrrev_b64 v[22:23], 20, v[24:25]
	v_cmp_gt_i32_e32 vcc, 16, v1
	v_cndmask_b32_e32 v23, 0, v23, vcc
	v_cndmask_b32_e32 v22, 7, v22, vcc
	v_cmp_eq_u32_e32 vcc, 0, v1
	v_min_i32_e32 v1, 15, v1
	v_cmp_eq_u64_e64 s[18:19], 0, v[22:23]
	v_lshlrev_b32_e32 v1, 3, v1
	v_and_or_b32 v1, v22, 7, v1
	s_and_b64 s[18:19], vcc, s[18:19]
	v_cndmask_b32_e64 v1, v1, 0, s[18:19]
	v_or_b32_e32 v1, v1, v2
.LBB2_294:                              ;   in Loop: Header=BB2_264 Depth=3
	s_or_b64 exec, exec, s[50:51]
.LBB2_295:                              ;   in Loop: Header=BB2_264 Depth=3
	s_or_b64 exec, exec, s[48:49]
                                        ; implicit-def: $vgpr33
                                        ; implicit-def: $vgpr24_vgpr25
.LBB2_296:                              ;   in Loop: Header=BB2_264 Depth=3
	s_andn2_saveexec_b64 s[18:19], s[46:47]
; %bb.297:                              ;   in Loop: Header=BB2_264 Depth=3
	v_or_b32_sdwa v2, v33, s62 dst_sel:DWORD dst_unused:UNUSED_PAD src0_sel:BYTE_3 src1_sel:DWORD
	v_cmp_eq_u64_e32 vcc, 0, v[24:25]
	v_cndmask_b32_e32 v1, v2, v1, vcc
; %bb.298:                              ;   in Loop: Header=BB2_264 Depth=3
	s_or_b64 exec, exec, s[18:19]
	v_lshrrev_b16_e32 v2, 8, v42
	v_cmp_ne_u16_e32 vcc, 0, v2
	v_mov_b32_e32 v24, 0
	s_and_saveexec_b64 s[18:19], vcc
	s_cbranch_execz .LBB2_304
; %bb.299:                              ;   in Loop: Header=BB2_264 Depth=3
	v_cmp_ne_u16_e32 vcc, s61, v2
	v_bfrev_b32_e32 v24, 1
	s_and_saveexec_b64 s[46:47], vcc
	s_cbranch_execz .LBB2_303
; %bb.300:                              ;   in Loop: Header=BB2_264 Depth=3
	v_and_b32_e32 v22, 0x7f, v2
	v_cmp_ne_u32_e32 vcc, s62, v22
	v_mov_b32_e32 v24, 0x7f800001
	s_and_saveexec_b64 s[48:49], vcc
	s_cbranch_execz .LBB2_302
; %bb.301:                              ;   in Loop: Header=BB2_264 Depth=3
	v_and_b32_e32 v23, 7, v2
	v_ffbh_u32_e32 v24, v23
	v_min_u32_e32 v36, 32, v24
	v_subrev_u32_e32 v24, 28, v36
	v_lshlrev_b64 v[24:25], v24, v[2:3]
	v_lshrrev_b32_e32 v33, 3, v22
	v_sub_u32_e32 v2, 29, v36
	v_and_b32_e32 v24, 7, v24
	v_cmp_gt_u32_e32 vcc, 8, v22
	v_cndmask_b32_e32 v2, v33, v2, vcc
	v_cndmask_b32_e32 v22, v23, v24, vcc
	v_lshlrev_b32_e32 v23, 16, v42
	v_lshlrev_b32_e32 v22, 20, v22
	v_and_b32_e32 v23, 0x80000000, v23
	v_lshl_add_u32 v2, v2, 23, v47
	v_or3_b32 v24, v23, v2, v22
.LBB2_302:                              ;   in Loop: Header=BB2_264 Depth=3
	s_or_b64 exec, exec, s[48:49]
.LBB2_303:                              ;   in Loop: Header=BB2_264 Depth=3
	s_or_b64 exec, exec, s[46:47]
.LBB2_304:                              ;   in Loop: Header=BB2_264 Depth=3
	s_or_b64 exec, exec, s[18:19]
	v_mul_f32_e32 v33, v62, v24
	v_and_b32_sdwa v2, v33, s61 dst_sel:DWORD dst_unused:UNUSED_PAD src0_sel:BYTE_3 src1_sel:DWORD
	v_and_b32_e32 v22, 0x7f800000, v33
	v_mov_b32_e32 v23, v43
	v_and_b32_e32 v24, 0x7fffff, v33
	v_mov_b32_e32 v25, v43
	v_or_b32_e32 v61, 0x7e, v2
	v_cmp_ne_u64_e32 vcc, s[36:37], v[22:23]
	s_and_saveexec_b64 s[18:19], vcc
	s_xor_b64 s[46:47], exec, s[18:19]
	s_cbranch_execz .LBB2_314
; %bb.305:                              ;   in Loop: Header=BB2_264 Depth=3
	v_and_b32_e32 v22, 0x7fffffff, v33
	v_mov_b32_e32 v23, v43
	v_cmp_gt_u64_e32 vcc, s[38:39], v[22:23]
	s_and_saveexec_b64 s[48:49], vcc
	s_cbranch_execz .LBB2_313
; %bb.306:                              ;   in Loop: Header=BB2_264 Depth=3
	v_cmp_ne_u32_e32 vcc, 0, v33
	v_mov_b32_e32 v61, 0
	s_and_saveexec_b64 s[50:51], vcc
	s_cbranch_execz .LBB2_312
; %bb.307:                              ;   in Loop: Header=BB2_264 Depth=3
	v_bfe_u32 v22, v33, 23, 8
	v_sub_u32_e32 v33, 0x79, v22
	v_cmp_gt_u32_e32 vcc, s63, v22
	v_cndmask_b32_e32 v33, 0, v33, vcc
	v_cmp_eq_u32_e32 vcc, 0, v22
	v_cndmask_b32_e32 v33, v33, v6, vcc
	v_add_u32_e32 v23, 0xffffff81, v22
	v_add_u32_e32 v22, 20, v33
	v_or_b32_e32 v36, 0x800000, v24
	v_cndmask_b32_e32 v50, v23, v30, vcc
	v_lshlrev_b64 v[22:23], v22, -1
	v_cndmask_b32_e32 v24, v36, v24, vcc
	v_not_b32_e32 v22, v22
	v_and_b32_e32 v22, v24, v22
	v_lshrrev_b64 v[24:25], v33, v[24:25]
	v_not_b32_e32 v23, v23
	v_add_u32_e32 v36, 19, v33
	v_lshrrev_b32_e32 v51, 23, v24
	v_and_b32_e32 v23, 0, v23
	v_lshlrev_b64 v[36:37], v36, 1
	v_add3_u32 v60, v33, v50, v51
	v_bfe_u32 v33, v24, 20, 1
	v_add_u32_e32 v33, -1, v33
	v_cmp_eq_u64_e32 vcc, v[22:23], v[36:37]
	v_cndmask_b32_e32 v22, 0, v33, vcc
	v_add_u32_e32 v22, v22, v24
	v_and_b32_e32 v22, 0xfffff, v22
	v_add_co_u32_e32 v24, vcc, v22, v24
	v_add_u32_e32 v44, 6, v60
	v_addc_co_u32_e32 v25, vcc, 0, v25, vcc
	v_cmp_ne_u32_e32 vcc, 0, v44
                                        ; implicit-def: $vgpr33
	s_and_saveexec_b64 s[18:19], vcc
	s_xor_b64 s[18:19], exec, s[18:19]
; %bb.308:                              ;   in Loop: Header=BB2_264 Depth=3
	v_add_u32_e32 v22, 7, v60
	v_cmp_lt_u64_e32 vcc, s[40:41], v[24:25]
	v_cndmask_b32_e32 v33, v44, v22, vcc
	v_cndmask_b32_e64 v22, 0, 1, vcc
	v_lshrrev_b64 v[24:25], v22, v[24:25]
; %bb.309:                              ;   in Loop: Header=BB2_264 Depth=3
	s_andn2_saveexec_b64 s[18:19], s[18:19]
; %bb.310:                              ;   in Loop: Header=BB2_264 Depth=3
	v_bfe_u32 v33, v24, 23, 1
; %bb.311:                              ;   in Loop: Header=BB2_264 Depth=3
	s_or_b64 exec, exec, s[18:19]
	v_lshrrev_b64 v[22:23], 20, v[24:25]
	v_cmp_gt_i32_e32 vcc, 16, v33
	v_cndmask_b32_e32 v23, 0, v23, vcc
	v_cndmask_b32_e32 v22, 7, v22, vcc
	v_cmp_eq_u64_e64 s[18:19], 0, v[22:23]
	v_min_i32_e32 v23, 15, v33
	v_cmp_eq_u32_e32 vcc, 0, v33
	v_lshlrev_b32_e32 v23, 3, v23
	v_and_or_b32 v22, v22, 7, v23
	s_and_b64 s[18:19], vcc, s[18:19]
	v_cndmask_b32_e64 v22, v22, 0, s[18:19]
	v_or_b32_e32 v61, v22, v2
.LBB2_312:                              ;   in Loop: Header=BB2_264 Depth=3
	s_or_b64 exec, exec, s[50:51]
.LBB2_313:                              ;   in Loop: Header=BB2_264 Depth=3
	s_or_b64 exec, exec, s[48:49]
                                        ; implicit-def: $vgpr33
                                        ; implicit-def: $vgpr24_vgpr25
.LBB2_314:                              ;   in Loop: Header=BB2_264 Depth=3
	s_andn2_saveexec_b64 s[18:19], s[46:47]
; %bb.315:                              ;   in Loop: Header=BB2_264 Depth=3
	v_or_b32_sdwa v2, v33, s62 dst_sel:DWORD dst_unused:UNUSED_PAD src0_sel:BYTE_3 src1_sel:DWORD
	v_cmp_eq_u64_e32 vcc, 0, v[24:25]
	v_cndmask_b32_e32 v61, v2, v61, vcc
; %bb.316:                              ;   in Loop: Header=BB2_264 Depth=3
	s_or_b64 exec, exec, s[18:19]
	v_and_b32_sdwa v22, v42, s60 dst_sel:DWORD dst_unused:UNUSED_PAD src0_sel:WORD_1 src1_sel:DWORD
	v_lshrrev_b32_e32 v2, 16, v42
	v_cmp_ne_u16_e32 vcc, 0, v22
	v_mov_b32_e32 v24, 0
	s_and_saveexec_b64 s[18:19], vcc
	s_cbranch_execz .LBB2_322
; %bb.317:                              ;   in Loop: Header=BB2_264 Depth=3
	v_cmp_ne_u16_e32 vcc, s61, v22
	v_bfrev_b32_e32 v24, 1
	s_and_saveexec_b64 s[46:47], vcc
	s_cbranch_execz .LBB2_321
; %bb.318:                              ;   in Loop: Header=BB2_264 Depth=3
	v_bfe_u32 v22, v42, 16, 7
	v_cmp_ne_u32_e32 vcc, s62, v22
	v_mov_b32_e32 v24, 0x7f800001
	s_and_saveexec_b64 s[48:49], vcc
	s_cbranch_execz .LBB2_320
; %bb.319:                              ;   in Loop: Header=BB2_264 Depth=3
	v_and_b32_e32 v23, 7, v2
	v_ffbh_u32_e32 v24, v23
	v_min_u32_e32 v36, 32, v24
	v_subrev_u32_e32 v24, 28, v36
	v_lshlrev_b64 v[24:25], v24, v[2:3]
	v_lshrrev_b32_e32 v33, 3, v22
	v_sub_u32_e32 v2, 29, v36
	v_and_b32_e32 v24, 7, v24
	v_cmp_gt_u32_e32 vcc, 8, v22
	v_cndmask_b32_e32 v2, v33, v2, vcc
	v_cndmask_b32_e32 v22, v23, v24, vcc
	v_lshlrev_b32_sdwa v23, v7, v42 dst_sel:DWORD dst_unused:UNUSED_PAD src0_sel:DWORD src1_sel:WORD_1
	v_lshlrev_b32_e32 v22, 20, v22
	v_and_b32_e32 v23, 0x80000000, v23
	v_lshl_add_u32 v2, v2, 23, v47
	v_or3_b32 v24, v23, v2, v22
.LBB2_320:                              ;   in Loop: Header=BB2_264 Depth=3
	s_or_b64 exec, exec, s[48:49]
.LBB2_321:                              ;   in Loop: Header=BB2_264 Depth=3
	s_or_b64 exec, exec, s[46:47]
.LBB2_322:                              ;   in Loop: Header=BB2_264 Depth=3
	s_or_b64 exec, exec, s[18:19]
	v_mul_f32_e32 v44, v62, v24
	v_and_b32_sdwa v33, v44, s61 dst_sel:DWORD dst_unused:UNUSED_PAD src0_sel:BYTE_3 src1_sel:DWORD
	v_and_b32_e32 v22, 0x7f800000, v44
	v_mov_b32_e32 v23, v43
	v_and_b32_e32 v24, 0x7fffff, v44
	v_mov_b32_e32 v25, v43
	v_or_b32_e32 v2, 0x7e, v33
	v_cmp_ne_u64_e32 vcc, s[36:37], v[22:23]
	s_and_saveexec_b64 s[18:19], vcc
	s_xor_b64 s[46:47], exec, s[18:19]
	s_cbranch_execz .LBB2_332
; %bb.323:                              ;   in Loop: Header=BB2_264 Depth=3
	v_and_b32_e32 v22, 0x7fffffff, v44
	v_mov_b32_e32 v23, v43
	v_cmp_gt_u64_e32 vcc, s[38:39], v[22:23]
	s_and_saveexec_b64 s[48:49], vcc
	s_cbranch_execz .LBB2_331
; %bb.324:                              ;   in Loop: Header=BB2_264 Depth=3
	v_cmp_ne_u32_e32 vcc, 0, v44
	v_mov_b32_e32 v2, 0
	s_and_saveexec_b64 s[50:51], vcc
	s_cbranch_execz .LBB2_330
; %bb.325:                              ;   in Loop: Header=BB2_264 Depth=3
	v_bfe_u32 v2, v44, 23, 8
	v_sub_u32_e32 v23, 0x79, v2
	v_cmp_gt_u32_e32 vcc, s63, v2
	v_cndmask_b32_e32 v23, 0, v23, vcc
	v_cmp_eq_u32_e32 vcc, 0, v2
	v_add_u32_e32 v22, 0xffffff81, v2
	v_cndmask_b32_e32 v50, v23, v6, vcc
	v_cndmask_b32_e32 v2, v22, v30, vcc
	v_add_u32_e32 v22, 20, v50
	v_or_b32_e32 v36, 0x800000, v24
	v_lshlrev_b64 v[22:23], v22, -1
	v_cndmask_b32_e32 v24, v36, v24, vcc
	v_not_b32_e32 v22, v22
	v_and_b32_e32 v22, v24, v22
	v_lshrrev_b64 v[24:25], v50, v[24:25]
	v_not_b32_e32 v23, v23
	v_add_u32_e32 v36, 19, v50
	v_lshrrev_b32_e32 v51, 23, v24
	v_and_b32_e32 v23, 0, v23
	v_lshlrev_b64 v[36:37], v36, 1
	v_add3_u32 v60, v50, v2, v51
	v_bfe_u32 v2, v24, 20, 1
	v_add_u32_e32 v2, -1, v2
	v_cmp_eq_u64_e32 vcc, v[22:23], v[36:37]
	v_cndmask_b32_e32 v2, 0, v2, vcc
	v_add_u32_e32 v2, v2, v24
	v_and_b32_e32 v2, 0xfffff, v2
	v_add_co_u32_e32 v24, vcc, v2, v24
	v_add_u32_e32 v44, 6, v60
	v_addc_co_u32_e32 v25, vcc, 0, v25, vcc
	v_cmp_ne_u32_e32 vcc, 0, v44
                                        ; implicit-def: $vgpr2
	s_and_saveexec_b64 s[18:19], vcc
	s_xor_b64 s[18:19], exec, s[18:19]
; %bb.326:                              ;   in Loop: Header=BB2_264 Depth=3
	v_cmp_lt_u64_e32 vcc, s[40:41], v[24:25]
	v_add_u32_e32 v2, 7, v60
	v_cndmask_b32_e64 v22, 0, 1, vcc
	v_cndmask_b32_e32 v2, v44, v2, vcc
	v_lshrrev_b64 v[24:25], v22, v[24:25]
; %bb.327:                              ;   in Loop: Header=BB2_264 Depth=3
	s_andn2_saveexec_b64 s[18:19], s[18:19]
; %bb.328:                              ;   in Loop: Header=BB2_264 Depth=3
	v_bfe_u32 v2, v24, 23, 1
; %bb.329:                              ;   in Loop: Header=BB2_264 Depth=3
	s_or_b64 exec, exec, s[18:19]
	v_lshrrev_b64 v[22:23], 20, v[24:25]
	v_cmp_gt_i32_e32 vcc, 16, v2
	v_cndmask_b32_e32 v23, 0, v23, vcc
	v_cndmask_b32_e32 v22, 7, v22, vcc
	v_cmp_eq_u32_e32 vcc, 0, v2
	v_min_i32_e32 v2, 15, v2
	v_cmp_eq_u64_e64 s[18:19], 0, v[22:23]
	v_lshlrev_b32_e32 v2, 3, v2
	v_and_or_b32 v2, v22, 7, v2
	s_and_b64 s[18:19], vcc, s[18:19]
	v_cndmask_b32_e64 v2, v2, 0, s[18:19]
	v_or_b32_e32 v2, v2, v33
.LBB2_330:                              ;   in Loop: Header=BB2_264 Depth=3
	s_or_b64 exec, exec, s[50:51]
.LBB2_331:                              ;   in Loop: Header=BB2_264 Depth=3
	s_or_b64 exec, exec, s[48:49]
                                        ; implicit-def: $vgpr44
                                        ; implicit-def: $vgpr24_vgpr25
.LBB2_332:                              ;   in Loop: Header=BB2_264 Depth=3
	s_andn2_saveexec_b64 s[18:19], s[46:47]
; %bb.333:                              ;   in Loop: Header=BB2_264 Depth=3
	v_or_b32_sdwa v22, v44, s62 dst_sel:DWORD dst_unused:UNUSED_PAD src0_sel:BYTE_3 src1_sel:DWORD
	v_cmp_eq_u64_e32 vcc, 0, v[24:25]
	v_cndmask_b32_e32 v2, v22, v2, vcc
; %bb.334:                              ;   in Loop: Header=BB2_264 Depth=3
	s_or_b64 exec, exec, s[18:19]
	v_cmp_lt_u32_e32 vcc, s64, v42
	v_mov_b32_e32 v25, 0
	s_and_saveexec_b64 s[18:19], vcc
	s_cbranch_execz .LBB2_340
; %bb.335:                              ;   in Loop: Header=BB2_264 Depth=3
	v_lshrrev_b32_e32 v24, 24, v42
	v_cmp_ne_u32_sdwa vcc, v42, s61 src0_sel:BYTE_3 src1_sel:DWORD
	v_bfrev_b32_e32 v25, 1
	s_and_saveexec_b64 s[46:47], vcc
	s_cbranch_execz .LBB2_339
; %bb.336:                              ;   in Loop: Header=BB2_264 Depth=3
	v_bfe_u32 v22, v42, 24, 7
	v_cmp_ne_u32_e32 vcc, s62, v22
	v_mov_b32_e32 v25, 0x7f800001
	s_and_saveexec_b64 s[48:49], vcc
	s_cbranch_execz .LBB2_338
; %bb.337:                              ;   in Loop: Header=BB2_264 Depth=3
	v_and_b32_e32 v23, 7, v24
	v_ffbh_u32_e32 v25, v23
	v_min_u32_e32 v36, 32, v25
	v_subrev_u32_e32 v25, 28, v36
	v_lshlrev_b64 v[24:25], v25, v[24:25]
	v_lshrrev_b32_e32 v33, 3, v22
	v_sub_u32_e32 v25, 29, v36
	v_and_b32_e32 v24, 7, v24
	v_cmp_gt_u32_e32 vcc, 8, v22
	v_cndmask_b32_e32 v22, v33, v25, vcc
	v_cndmask_b32_e32 v23, v23, v24, vcc
	v_lshlrev_b32_sdwa v24, v7, v42 dst_sel:DWORD dst_unused:UNUSED_PAD src0_sel:DWORD src1_sel:BYTE_3
	v_lshlrev_b32_e32 v23, 20, v23
	v_and_b32_e32 v24, 0x80000000, v24
	v_lshl_add_u32 v22, v22, 23, v47
	v_or3_b32 v25, v24, v22, v23
.LBB2_338:                              ;   in Loop: Header=BB2_264 Depth=3
	s_or_b64 exec, exec, s[48:49]
.LBB2_339:                              ;   in Loop: Header=BB2_264 Depth=3
	s_or_b64 exec, exec, s[46:47]
.LBB2_340:                              ;   in Loop: Header=BB2_264 Depth=3
	s_or_b64 exec, exec, s[18:19]
	v_mul_f32_e32 v24, v62, v25
	v_and_b32_sdwa v33, v24, s61 dst_sel:DWORD dst_unused:UNUSED_PAD src0_sel:BYTE_3 src1_sel:DWORD
	v_and_b32_e32 v22, 0x7f800000, v24
	v_mov_b32_e32 v23, v43
	v_and_b32_e32 v42, 0x7fffff, v24
	v_or_b32_e32 v60, 0x7e, v33
	v_cmp_ne_u64_e32 vcc, s[36:37], v[22:23]
	s_and_saveexec_b64 s[18:19], vcc
	s_xor_b64 s[46:47], exec, s[18:19]
	s_cbranch_execz .LBB2_350
; %bb.341:                              ;   in Loop: Header=BB2_264 Depth=3
	v_and_b32_e32 v22, 0x7fffffff, v24
	v_mov_b32_e32 v23, v43
	v_cmp_gt_u64_e32 vcc, s[38:39], v[22:23]
	s_and_saveexec_b64 s[48:49], vcc
	s_cbranch_execz .LBB2_349
; %bb.342:                              ;   in Loop: Header=BB2_264 Depth=3
	v_cmp_ne_u32_e32 vcc, 0, v24
	v_mov_b32_e32 v60, 0
	s_and_saveexec_b64 s[50:51], vcc
	s_cbranch_execz .LBB2_348
; %bb.343:                              ;   in Loop: Header=BB2_264 Depth=3
	v_bfe_u32 v22, v24, 23, 8
	v_sub_u32_e32 v24, 0x79, v22
	v_cmp_gt_u32_e32 vcc, s63, v22
	v_cndmask_b32_e32 v24, 0, v24, vcc
	v_cmp_eq_u32_e32 vcc, 0, v22
	v_cndmask_b32_e32 v51, v24, v6, vcc
	v_add_u32_e32 v23, 0xffffff81, v22
	v_or_b32_e32 v25, 0x800000, v42
	v_add_u32_e32 v22, 20, v51
	v_cndmask_b32_e32 v50, v23, v30, vcc
	v_cndmask_b32_e32 v42, v25, v42, vcc
	v_lshlrev_b64 v[22:23], v22, -1
	v_not_b32_e32 v22, v22
	v_lshrrev_b64 v[36:37], v51, v[42:43]
	v_not_b32_e32 v23, v23
	v_and_b32_e32 v22, v42, v22
	v_add_u32_e32 v24, 19, v51
	v_lshrrev_b32_e32 v42, 23, v36
	v_and_b32_e32 v23, 0, v23
	v_lshlrev_b64 v[24:25], v24, 1
	v_add3_u32 v60, v51, v50, v42
	v_bfe_u32 v50, v36, 20, 1
	v_add_u32_e32 v50, -1, v50
	v_cmp_eq_u64_e32 vcc, v[22:23], v[24:25]
	v_cndmask_b32_e32 v22, 0, v50, vcc
	v_add_u32_e32 v22, v22, v36
	v_and_b32_e32 v22, 0xfffff, v22
	v_add_co_u32_e32 v24, vcc, v22, v36
	v_add_u32_e32 v44, 6, v60
	v_addc_co_u32_e32 v25, vcc, 0, v37, vcc
	v_cmp_ne_u32_e32 vcc, 0, v44
                                        ; implicit-def: $vgpr42
	s_and_saveexec_b64 s[18:19], vcc
	s_xor_b64 s[18:19], exec, s[18:19]
; %bb.344:                              ;   in Loop: Header=BB2_264 Depth=3
	v_add_u32_e32 v22, 7, v60
	v_cmp_lt_u64_e32 vcc, s[40:41], v[24:25]
	v_cndmask_b32_e32 v42, v44, v22, vcc
	v_cndmask_b32_e64 v22, 0, 1, vcc
	v_lshrrev_b64 v[24:25], v22, v[24:25]
; %bb.345:                              ;   in Loop: Header=BB2_264 Depth=3
	s_andn2_saveexec_b64 s[18:19], s[18:19]
; %bb.346:                              ;   in Loop: Header=BB2_264 Depth=3
	v_bfe_u32 v42, v24, 23, 1
; %bb.347:                              ;   in Loop: Header=BB2_264 Depth=3
	s_or_b64 exec, exec, s[18:19]
	v_lshrrev_b64 v[22:23], 20, v[24:25]
	v_cmp_gt_i32_e32 vcc, 16, v42
	v_cndmask_b32_e32 v23, 0, v23, vcc
	v_cndmask_b32_e32 v22, 7, v22, vcc
	v_cmp_eq_u64_e64 s[18:19], 0, v[22:23]
	v_min_i32_e32 v23, 15, v42
	v_cmp_eq_u32_e32 vcc, 0, v42
	v_lshlrev_b32_e32 v23, 3, v23
	v_and_or_b32 v22, v22, 7, v23
	s_and_b64 s[18:19], vcc, s[18:19]
	v_cndmask_b32_e64 v22, v22, 0, s[18:19]
	v_or_b32_e32 v60, v22, v33
.LBB2_348:                              ;   in Loop: Header=BB2_264 Depth=3
	s_or_b64 exec, exec, s[50:51]
.LBB2_349:                              ;   in Loop: Header=BB2_264 Depth=3
	s_or_b64 exec, exec, s[48:49]
                                        ; implicit-def: $vgpr24
.LBB2_350:                              ;   in Loop: Header=BB2_264 Depth=3
	s_andn2_saveexec_b64 s[18:19], s[46:47]
; %bb.351:                              ;   in Loop: Header=BB2_264 Depth=3
	v_or_b32_sdwa v22, v24, s62 dst_sel:DWORD dst_unused:UNUSED_PAD src0_sel:BYTE_3 src1_sel:DWORD
	v_cmp_eq_u64_e32 vcc, 0, v[42:43]
	v_cndmask_b32_e32 v60, v22, v60, vcc
; %bb.352:                              ;   in Loop: Header=BB2_264 Depth=3
	s_or_b64 exec, exec, s[18:19]
	v_alignbit_b32 v42, v26, v27, v31
	v_cmp_ne_u16_sdwa vcc, v42, v43 src0_sel:BYTE_0 src1_sel:DWORD
	v_mov_b32_e32 v24, 0
	s_and_saveexec_b64 s[18:19], vcc
	s_cbranch_execz .LBB2_358
; %bb.353:                              ;   in Loop: Header=BB2_264 Depth=3
	v_cmp_ne_u16_sdwa vcc, v42, s61 src0_sel:BYTE_0 src1_sel:DWORD
	v_bfrev_b32_e32 v24, 1
	s_and_saveexec_b64 s[46:47], vcc
	s_cbranch_execz .LBB2_357
; %bb.354:                              ;   in Loop: Header=BB2_264 Depth=3
	v_and_b32_e32 v22, 0x7f, v42
	v_cmp_ne_u32_e32 vcc, s62, v22
	v_mov_b32_e32 v24, 0x7f800001
	s_and_saveexec_b64 s[48:49], vcc
	s_cbranch_execz .LBB2_356
; %bb.355:                              ;   in Loop: Header=BB2_264 Depth=3
	v_and_b32_e32 v23, 7, v42
	v_ffbh_u32_e32 v23, v23
	v_min_u32_e32 v23, 32, v23
	v_subrev_u32_e32 v25, 28, v23
	v_cmp_gt_u32_e32 vcc, 8, v22
	v_lshrrev_b32_e32 v24, 3, v22
	v_sub_u32_e32 v23, 29, v23
	v_cndmask_b32_e32 v22, 0, v25, vcc
	v_cndmask_b32_e32 v24, v24, v23, vcc
	v_lshlrev_b64 v[22:23], v22, v[42:43]
	v_lshlrev_b32_e32 v22, 20, v22
	v_lshlrev_b32_e32 v23, 24, v42
	v_and_b32_e32 v22, 0x700000, v22
	v_and_b32_e32 v23, 0x80000000, v23
	v_lshl_add_u32 v24, v24, 23, v47
	v_or3_b32 v24, v23, v24, v22
.LBB2_356:                              ;   in Loop: Header=BB2_264 Depth=3
	s_or_b64 exec, exec, s[48:49]
.LBB2_357:                              ;   in Loop: Header=BB2_264 Depth=3
	s_or_b64 exec, exec, s[46:47]
.LBB2_358:                              ;   in Loop: Header=BB2_264 Depth=3
	s_or_b64 exec, exec, s[18:19]
	v_mul_f32_e32 v27, v62, v24
	v_and_b32_sdwa v26, v27, s61 dst_sel:DWORD dst_unused:UNUSED_PAD src0_sel:BYTE_3 src1_sel:DWORD
	v_and_b32_e32 v22, 0x7f800000, v27
	v_mov_b32_e32 v23, v43
	v_and_b32_e32 v24, 0x7fffff, v27
	v_mov_b32_e32 v25, v43
	v_or_b32_e32 v33, 0x7e, v26
	v_cmp_ne_u64_e32 vcc, s[36:37], v[22:23]
	s_and_saveexec_b64 s[18:19], vcc
	s_xor_b64 s[46:47], exec, s[18:19]
	s_cbranch_execz .LBB2_368
; %bb.359:                              ;   in Loop: Header=BB2_264 Depth=3
	v_and_b32_e32 v22, 0x7fffffff, v27
	v_mov_b32_e32 v23, v43
	v_cmp_gt_u64_e32 vcc, s[38:39], v[22:23]
	s_and_saveexec_b64 s[48:49], vcc
	s_cbranch_execz .LBB2_367
; %bb.360:                              ;   in Loop: Header=BB2_264 Depth=3
	v_cmp_ne_u32_e32 vcc, 0, v27
	v_mov_b32_e32 v33, 0
	s_and_saveexec_b64 s[50:51], vcc
	s_cbranch_execz .LBB2_366
; %bb.361:                              ;   in Loop: Header=BB2_264 Depth=3
	v_bfe_u32 v22, v27, 23, 8
	v_sub_u32_e32 v27, 0x79, v22
	v_cmp_gt_u32_e32 vcc, s63, v22
	v_cndmask_b32_e32 v27, 0, v27, vcc
	v_cmp_eq_u32_e32 vcc, 0, v22
	v_cndmask_b32_e32 v27, v27, v6, vcc
	v_add_u32_e32 v23, 0xffffff81, v22
	v_add_u32_e32 v22, 20, v27
	v_or_b32_e32 v31, 0x800000, v24
	v_cndmask_b32_e32 v33, v23, v30, vcc
	v_lshlrev_b64 v[22:23], v22, -1
	v_cndmask_b32_e32 v24, v31, v24, vcc
	v_not_b32_e32 v22, v22
	v_and_b32_e32 v22, v24, v22
	v_add_u32_e32 v31, 19, v27
	v_lshrrev_b64 v[24:25], v27, v[24:25]
	v_not_b32_e32 v23, v23
	v_lshlrev_b64 v[36:37], v31, 1
	v_lshrrev_b32_e32 v31, 23, v24
	v_and_b32_e32 v23, 0, v23
	v_add3_u32 v33, v27, v33, v31
	v_bfe_u32 v27, v24, 20, 1
	v_add_u32_e32 v27, -1, v27
	v_cmp_eq_u64_e32 vcc, v[22:23], v[36:37]
	v_cndmask_b32_e32 v22, 0, v27, vcc
	v_add_u32_e32 v22, v22, v24
	v_and_b32_e32 v22, 0xfffff, v22
	v_add_co_u32_e32 v24, vcc, v22, v24
	v_add_u32_e32 v31, 6, v33
	v_addc_co_u32_e32 v25, vcc, 0, v25, vcc
	v_cmp_ne_u32_e32 vcc, 0, v31
                                        ; implicit-def: $vgpr27
	s_and_saveexec_b64 s[18:19], vcc
	s_xor_b64 s[18:19], exec, s[18:19]
; %bb.362:                              ;   in Loop: Header=BB2_264 Depth=3
	v_add_u32_e32 v22, 7, v33
	v_cmp_lt_u64_e32 vcc, s[40:41], v[24:25]
	v_cndmask_b32_e32 v27, v31, v22, vcc
	v_cndmask_b32_e64 v22, 0, 1, vcc
	v_lshrrev_b64 v[24:25], v22, v[24:25]
; %bb.363:                              ;   in Loop: Header=BB2_264 Depth=3
	s_andn2_saveexec_b64 s[18:19], s[18:19]
; %bb.364:                              ;   in Loop: Header=BB2_264 Depth=3
	v_bfe_u32 v27, v24, 23, 1
; %bb.365:                              ;   in Loop: Header=BB2_264 Depth=3
	s_or_b64 exec, exec, s[18:19]
	v_lshrrev_b64 v[22:23], 20, v[24:25]
	v_cmp_gt_i32_e32 vcc, 16, v27
	v_cndmask_b32_e32 v23, 0, v23, vcc
	v_cndmask_b32_e32 v22, 7, v22, vcc
	v_cmp_eq_u64_e64 s[18:19], 0, v[22:23]
	v_min_i32_e32 v23, 15, v27
	v_cmp_eq_u32_e32 vcc, 0, v27
	v_lshlrev_b32_e32 v23, 3, v23
	v_and_or_b32 v22, v22, 7, v23
	s_and_b64 s[18:19], vcc, s[18:19]
	v_cndmask_b32_e64 v22, v22, 0, s[18:19]
	v_or_b32_e32 v33, v22, v26
.LBB2_366:                              ;   in Loop: Header=BB2_264 Depth=3
	s_or_b64 exec, exec, s[50:51]
.LBB2_367:                              ;   in Loop: Header=BB2_264 Depth=3
	s_or_b64 exec, exec, s[48:49]
                                        ; implicit-def: $vgpr27
                                        ; implicit-def: $vgpr24_vgpr25
.LBB2_368:                              ;   in Loop: Header=BB2_264 Depth=3
	s_andn2_saveexec_b64 s[18:19], s[46:47]
; %bb.369:                              ;   in Loop: Header=BB2_264 Depth=3
	v_or_b32_sdwa v22, v27, s62 dst_sel:DWORD dst_unused:UNUSED_PAD src0_sel:BYTE_3 src1_sel:DWORD
	v_cmp_eq_u64_e32 vcc, 0, v[24:25]
	v_cndmask_b32_e32 v33, v22, v33, vcc
; %bb.370:                              ;   in Loop: Header=BB2_264 Depth=3
	s_or_b64 exec, exec, s[18:19]
	v_lshrrev_b16_e32 v24, 8, v42
	v_cmp_ne_u16_e32 vcc, 0, v24
	v_mov_b32_e32 v25, 0
	s_and_saveexec_b64 s[18:19], vcc
	s_cbranch_execz .LBB2_376
; %bb.371:                              ;   in Loop: Header=BB2_264 Depth=3
	v_cmp_ne_u16_e32 vcc, s61, v24
	v_bfrev_b32_e32 v25, 1
	s_and_saveexec_b64 s[46:47], vcc
	s_cbranch_execz .LBB2_375
; %bb.372:                              ;   in Loop: Header=BB2_264 Depth=3
	v_and_b32_e32 v22, 0x7f, v24
	v_cmp_ne_u32_e32 vcc, s62, v22
	v_mov_b32_e32 v25, 0x7f800001
	s_and_saveexec_b64 s[48:49], vcc
	s_cbranch_execz .LBB2_374
; %bb.373:                              ;   in Loop: Header=BB2_264 Depth=3
	v_and_b32_e32 v23, 7, v24
	v_ffbh_u32_e32 v25, v23
	v_min_u32_e32 v27, 32, v25
	v_subrev_u32_e32 v25, 28, v27
	v_lshlrev_b64 v[24:25], v25, v[24:25]
	v_lshrrev_b32_e32 v26, 3, v22
	v_sub_u32_e32 v25, 29, v27
	v_and_b32_e32 v24, 7, v24
	v_cmp_gt_u32_e32 vcc, 8, v22
	v_cndmask_b32_e32 v22, v26, v25, vcc
	v_cndmask_b32_e32 v23, v23, v24, vcc
	v_lshlrev_b32_e32 v24, 16, v42
	v_lshlrev_b32_e32 v23, 20, v23
	v_and_b32_e32 v24, 0x80000000, v24
	v_lshl_add_u32 v22, v22, 23, v47
	v_or3_b32 v25, v24, v22, v23
.LBB2_374:                              ;   in Loop: Header=BB2_264 Depth=3
	s_or_b64 exec, exec, s[48:49]
.LBB2_375:                              ;   in Loop: Header=BB2_264 Depth=3
	s_or_b64 exec, exec, s[46:47]
.LBB2_376:                              ;   in Loop: Header=BB2_264 Depth=3
	s_or_b64 exec, exec, s[18:19]
	v_mul_f32_e32 v27, v62, v25
	v_and_b32_sdwa v26, v27, s61 dst_sel:DWORD dst_unused:UNUSED_PAD src0_sel:BYTE_3 src1_sel:DWORD
	v_and_b32_e32 v22, 0x7f800000, v27
	v_mov_b32_e32 v23, v43
	v_and_b32_e32 v24, 0x7fffff, v27
	v_mov_b32_e32 v25, v43
	v_or_b32_e32 v31, 0x7e, v26
	v_cmp_ne_u64_e32 vcc, s[36:37], v[22:23]
	s_and_saveexec_b64 s[18:19], vcc
	s_xor_b64 s[46:47], exec, s[18:19]
	s_cbranch_execz .LBB2_386
; %bb.377:                              ;   in Loop: Header=BB2_264 Depth=3
	v_and_b32_e32 v22, 0x7fffffff, v27
	v_mov_b32_e32 v23, v43
	v_cmp_gt_u64_e32 vcc, s[38:39], v[22:23]
	s_and_saveexec_b64 s[48:49], vcc
	s_cbranch_execz .LBB2_385
; %bb.378:                              ;   in Loop: Header=BB2_264 Depth=3
	v_cmp_ne_u32_e32 vcc, 0, v27
	v_mov_b32_e32 v31, 0
	s_and_saveexec_b64 s[50:51], vcc
	s_cbranch_execz .LBB2_384
; %bb.379:                              ;   in Loop: Header=BB2_264 Depth=3
	v_bfe_u32 v22, v27, 23, 8
	v_sub_u32_e32 v27, 0x79, v22
	v_cmp_gt_u32_e32 vcc, s63, v22
	v_cndmask_b32_e32 v27, 0, v27, vcc
	v_cmp_eq_u32_e32 vcc, 0, v22
	v_cndmask_b32_e32 v27, v27, v6, vcc
	v_add_u32_e32 v23, 0xffffff81, v22
	v_add_u32_e32 v22, 20, v27
	v_or_b32_e32 v31, 0x800000, v24
	v_cndmask_b32_e32 v50, v23, v30, vcc
	v_lshlrev_b64 v[22:23], v22, -1
	v_cndmask_b32_e32 v24, v31, v24, vcc
	v_not_b32_e32 v22, v22
	v_and_b32_e32 v22, v24, v22
	v_add_u32_e32 v31, 19, v27
	v_lshrrev_b64 v[24:25], v27, v[24:25]
	v_not_b32_e32 v23, v23
	v_lshlrev_b64 v[36:37], v31, 1
	v_lshrrev_b32_e32 v31, 23, v24
	v_and_b32_e32 v23, 0, v23
	v_add3_u32 v44, v27, v50, v31
	v_bfe_u32 v27, v24, 20, 1
	v_add_u32_e32 v27, -1, v27
	v_cmp_eq_u64_e32 vcc, v[22:23], v[36:37]
	v_cndmask_b32_e32 v22, 0, v27, vcc
	v_add_u32_e32 v22, v22, v24
	v_and_b32_e32 v22, 0xfffff, v22
	v_add_co_u32_e32 v24, vcc, v22, v24
	v_add_u32_e32 v31, 6, v44
	v_addc_co_u32_e32 v25, vcc, 0, v25, vcc
	v_cmp_ne_u32_e32 vcc, 0, v31
                                        ; implicit-def: $vgpr27
	s_and_saveexec_b64 s[18:19], vcc
	s_xor_b64 s[18:19], exec, s[18:19]
; %bb.380:                              ;   in Loop: Header=BB2_264 Depth=3
	v_add_u32_e32 v22, 7, v44
	v_cmp_lt_u64_e32 vcc, s[40:41], v[24:25]
	v_cndmask_b32_e32 v27, v31, v22, vcc
	v_cndmask_b32_e64 v22, 0, 1, vcc
	v_lshrrev_b64 v[24:25], v22, v[24:25]
; %bb.381:                              ;   in Loop: Header=BB2_264 Depth=3
	s_andn2_saveexec_b64 s[18:19], s[18:19]
; %bb.382:                              ;   in Loop: Header=BB2_264 Depth=3
	v_bfe_u32 v27, v24, 23, 1
; %bb.383:                              ;   in Loop: Header=BB2_264 Depth=3
	s_or_b64 exec, exec, s[18:19]
	v_lshrrev_b64 v[22:23], 20, v[24:25]
	v_cmp_gt_i32_e32 vcc, 16, v27
	v_cndmask_b32_e32 v23, 0, v23, vcc
	v_cndmask_b32_e32 v22, 7, v22, vcc
	v_cmp_eq_u64_e64 s[18:19], 0, v[22:23]
	v_min_i32_e32 v23, 15, v27
	v_lshlrev_b32_e32 v23, 3, v23
	v_cmp_eq_u32_e32 vcc, 0, v27
	v_and_b32_e32 v23, 0xf8, v23
	v_and_or_b32 v22, v22, 7, v23
	s_and_b64 s[18:19], vcc, s[18:19]
	v_cndmask_b32_e64 v22, v22, 0, s[18:19]
	v_or_b32_e32 v31, v22, v26
.LBB2_384:                              ;   in Loop: Header=BB2_264 Depth=3
	s_or_b64 exec, exec, s[50:51]
.LBB2_385:                              ;   in Loop: Header=BB2_264 Depth=3
	s_or_b64 exec, exec, s[48:49]
                                        ; implicit-def: $vgpr27
                                        ; implicit-def: $vgpr24_vgpr25
.LBB2_386:                              ;   in Loop: Header=BB2_264 Depth=3
	s_andn2_saveexec_b64 s[18:19], s[46:47]
; %bb.387:                              ;   in Loop: Header=BB2_264 Depth=3
	v_or_b32_sdwa v22, v27, s62 dst_sel:DWORD dst_unused:UNUSED_PAD src0_sel:BYTE_3 src1_sel:DWORD
	v_cmp_eq_u64_e32 vcc, 0, v[24:25]
	v_cndmask_b32_e32 v31, v22, v31, vcc
; %bb.388:                              ;   in Loop: Header=BB2_264 Depth=3
	s_or_b64 exec, exec, s[18:19]
	v_and_b32_sdwa v22, v42, s60 dst_sel:DWORD dst_unused:UNUSED_PAD src0_sel:WORD_1 src1_sel:DWORD
	v_lshrrev_b32_e32 v24, 16, v42
	v_cmp_ne_u16_e32 vcc, 0, v22
	v_mov_b32_e32 v25, 0
	s_and_saveexec_b64 s[18:19], vcc
	s_cbranch_execz .LBB2_394
; %bb.389:                              ;   in Loop: Header=BB2_264 Depth=3
	v_cmp_ne_u16_e32 vcc, s61, v22
	v_bfrev_b32_e32 v25, 1
	s_and_saveexec_b64 s[46:47], vcc
	s_cbranch_execz .LBB2_393
; %bb.390:                              ;   in Loop: Header=BB2_264 Depth=3
	v_bfe_u32 v22, v42, 16, 7
	v_cmp_ne_u32_e32 vcc, s62, v22
	v_mov_b32_e32 v25, 0x7f800001
	s_and_saveexec_b64 s[48:49], vcc
	s_cbranch_execz .LBB2_392
; %bb.391:                              ;   in Loop: Header=BB2_264 Depth=3
	v_and_b32_e32 v23, 7, v24
	v_ffbh_u32_e32 v25, v23
	v_min_u32_e32 v27, 32, v25
	v_subrev_u32_e32 v25, 28, v27
	v_lshlrev_b64 v[24:25], v25, v[24:25]
	v_lshrrev_b32_e32 v26, 3, v22
	v_sub_u32_e32 v25, 29, v27
	v_and_b32_e32 v24, 7, v24
	v_cmp_gt_u32_e32 vcc, 8, v22
	v_cndmask_b32_e32 v22, v26, v25, vcc
	v_cndmask_b32_e32 v23, v23, v24, vcc
	v_lshlrev_b32_sdwa v24, v7, v42 dst_sel:DWORD dst_unused:UNUSED_PAD src0_sel:DWORD src1_sel:WORD_1
	v_lshlrev_b32_e32 v23, 20, v23
	v_and_b32_e32 v24, 0x80000000, v24
	v_lshl_add_u32 v22, v22, 23, v47
	v_or3_b32 v25, v24, v22, v23
.LBB2_392:                              ;   in Loop: Header=BB2_264 Depth=3
	s_or_b64 exec, exec, s[48:49]
.LBB2_393:                              ;   in Loop: Header=BB2_264 Depth=3
	s_or_b64 exec, exec, s[46:47]
.LBB2_394:                              ;   in Loop: Header=BB2_264 Depth=3
	s_or_b64 exec, exec, s[18:19]
	v_mul_f32_e32 v44, v62, v25
	v_and_b32_sdwa v27, v44, s61 dst_sel:DWORD dst_unused:UNUSED_PAD src0_sel:BYTE_3 src1_sel:DWORD
	v_and_b32_e32 v22, 0x7f800000, v44
	v_mov_b32_e32 v23, v43
	v_and_b32_e32 v24, 0x7fffff, v44
	v_mov_b32_e32 v25, v43
	v_or_b32_e32 v26, 0x7e, v27
	v_cmp_ne_u64_e32 vcc, s[36:37], v[22:23]
	s_and_saveexec_b64 s[18:19], vcc
	s_xor_b64 s[46:47], exec, s[18:19]
	s_cbranch_execz .LBB2_404
; %bb.395:                              ;   in Loop: Header=BB2_264 Depth=3
	v_and_b32_e32 v22, 0x7fffffff, v44
	v_mov_b32_e32 v23, v43
	v_cmp_gt_u64_e32 vcc, s[38:39], v[22:23]
	s_and_saveexec_b64 s[48:49], vcc
	s_cbranch_execz .LBB2_403
; %bb.396:                              ;   in Loop: Header=BB2_264 Depth=3
	v_cmp_ne_u32_e32 vcc, 0, v44
	v_mov_b32_e32 v26, 0
	s_and_saveexec_b64 s[50:51], vcc
	s_cbranch_execz .LBB2_402
; %bb.397:                              ;   in Loop: Header=BB2_264 Depth=3
	v_bfe_u32 v22, v44, 23, 8
	v_sub_u32_e32 v26, 0x79, v22
	v_cmp_gt_u32_e32 vcc, s63, v22
	v_cndmask_b32_e32 v26, 0, v26, vcc
	v_cmp_eq_u32_e32 vcc, 0, v22
	v_cndmask_b32_e32 v26, v26, v6, vcc
	v_add_u32_e32 v23, 0xffffff81, v22
	v_add_u32_e32 v22, 20, v26
	v_or_b32_e32 v36, 0x800000, v24
	v_cndmask_b32_e32 v44, v23, v30, vcc
	v_lshlrev_b64 v[22:23], v22, -1
	v_cndmask_b32_e32 v24, v36, v24, vcc
	v_not_b32_e32 v22, v22
	v_not_b32_e32 v23, v23
	v_and_b32_e32 v36, v24, v22
	v_add_u32_e32 v22, 19, v26
	v_lshrrev_b64 v[24:25], v26, v[24:25]
	v_and_b32_e32 v37, 0, v23
	v_lshlrev_b64 v[50:51], v22, 1
	v_bfe_u32 v23, v24, 20, 1
	v_add_u32_e32 v23, -1, v23
	v_cmp_eq_u64_e32 vcc, v[36:37], v[50:51]
	v_cndmask_b32_e32 v23, 0, v23, vcc
	v_add_u32_e32 v23, v23, v24
	v_lshrrev_b32_e32 v22, 23, v24
	v_and_b32_e32 v23, 0xfffff, v23
	v_add3_u32 v22, v26, v44, v22
	v_add_co_u32_e32 v24, vcc, v23, v24
	v_add_u32_e32 v44, 6, v22
	v_addc_co_u32_e32 v25, vcc, 0, v25, vcc
	v_cmp_ne_u32_e32 vcc, 0, v44
                                        ; implicit-def: $vgpr26
	s_and_saveexec_b64 s[18:19], vcc
	s_xor_b64 s[18:19], exec, s[18:19]
; %bb.398:                              ;   in Loop: Header=BB2_264 Depth=3
	v_add_u32_e32 v22, 7, v22
	v_cmp_lt_u64_e32 vcc, s[40:41], v[24:25]
	v_cndmask_b32_e32 v26, v44, v22, vcc
	v_cndmask_b32_e64 v22, 0, 1, vcc
	v_lshrrev_b64 v[24:25], v22, v[24:25]
; %bb.399:                              ;   in Loop: Header=BB2_264 Depth=3
	s_andn2_saveexec_b64 s[18:19], s[18:19]
; %bb.400:                              ;   in Loop: Header=BB2_264 Depth=3
	v_bfe_u32 v26, v24, 23, 1
; %bb.401:                              ;   in Loop: Header=BB2_264 Depth=3
	s_or_b64 exec, exec, s[18:19]
	v_lshrrev_b64 v[22:23], 20, v[24:25]
	v_cmp_gt_i32_e32 vcc, 16, v26
	v_cndmask_b32_e32 v23, 0, v23, vcc
	v_cndmask_b32_e32 v22, 7, v22, vcc
	v_cmp_eq_u64_e64 s[18:19], 0, v[22:23]
	v_min_i32_e32 v23, 15, v26
	v_lshlrev_b32_e32 v23, 3, v23
	v_cmp_eq_u32_e32 vcc, 0, v26
	v_and_b32_e32 v23, 0xf8, v23
	v_and_or_b32 v22, v22, 7, v23
	s_and_b64 s[18:19], vcc, s[18:19]
	v_cndmask_b32_e64 v22, v22, 0, s[18:19]
	v_or_b32_e32 v26, v22, v27
.LBB2_402:                              ;   in Loop: Header=BB2_264 Depth=3
	s_or_b64 exec, exec, s[50:51]
.LBB2_403:                              ;   in Loop: Header=BB2_264 Depth=3
	s_or_b64 exec, exec, s[48:49]
                                        ; implicit-def: $vgpr44
                                        ; implicit-def: $vgpr24_vgpr25
.LBB2_404:                              ;   in Loop: Header=BB2_264 Depth=3
	s_andn2_saveexec_b64 s[18:19], s[46:47]
; %bb.405:                              ;   in Loop: Header=BB2_264 Depth=3
	v_or_b32_sdwa v22, v44, s62 dst_sel:DWORD dst_unused:UNUSED_PAD src0_sel:BYTE_3 src1_sel:DWORD
	v_cmp_eq_u64_e32 vcc, 0, v[24:25]
	v_cndmask_b32_e32 v26, v22, v26, vcc
; %bb.406:                              ;   in Loop: Header=BB2_264 Depth=3
	s_or_b64 exec, exec, s[18:19]
	v_cmp_lt_u32_e32 vcc, s64, v42
	v_mov_b32_e32 v25, 0
	s_and_saveexec_b64 s[18:19], vcc
	s_cbranch_execz .LBB2_412
; %bb.407:                              ;   in Loop: Header=BB2_264 Depth=3
	v_lshrrev_b32_e32 v24, 24, v42
	v_cmp_ne_u32_sdwa vcc, v42, s61 src0_sel:BYTE_3 src1_sel:DWORD
	v_bfrev_b32_e32 v25, 1
	s_and_saveexec_b64 s[46:47], vcc
	s_cbranch_execz .LBB2_411
; %bb.408:                              ;   in Loop: Header=BB2_264 Depth=3
	v_bfe_u32 v22, v42, 24, 7
	v_cmp_ne_u32_e32 vcc, s62, v22
	v_mov_b32_e32 v25, 0x7f800001
	s_and_saveexec_b64 s[48:49], vcc
	s_cbranch_execz .LBB2_410
; %bb.409:                              ;   in Loop: Header=BB2_264 Depth=3
	v_and_b32_e32 v23, 7, v24
	v_ffbh_u32_e32 v25, v23
	v_min_u32_e32 v36, 32, v25
	v_subrev_u32_e32 v25, 28, v36
	v_lshlrev_b64 v[24:25], v25, v[24:25]
	v_lshrrev_b32_e32 v27, 3, v22
	v_sub_u32_e32 v25, 29, v36
	v_and_b32_e32 v24, 7, v24
	v_cmp_gt_u32_e32 vcc, 8, v22
	v_cndmask_b32_e32 v22, v27, v25, vcc
	v_cndmask_b32_e32 v23, v23, v24, vcc
	v_lshlrev_b32_sdwa v24, v7, v42 dst_sel:DWORD dst_unused:UNUSED_PAD src0_sel:DWORD src1_sel:BYTE_3
	v_lshlrev_b32_e32 v23, 20, v23
	v_and_b32_e32 v24, 0x80000000, v24
	v_lshl_add_u32 v22, v22, 23, v47
	v_or3_b32 v25, v24, v22, v23
.LBB2_410:                              ;   in Loop: Header=BB2_264 Depth=3
	s_or_b64 exec, exec, s[48:49]
.LBB2_411:                              ;   in Loop: Header=BB2_264 Depth=3
	s_or_b64 exec, exec, s[46:47]
.LBB2_412:                              ;   in Loop: Header=BB2_264 Depth=3
	s_or_b64 exec, exec, s[18:19]
	v_mul_f32_e32 v24, v62, v25
	v_and_b32_sdwa v44, v24, s61 dst_sel:DWORD dst_unused:UNUSED_PAD src0_sel:BYTE_3 src1_sel:DWORD
	v_and_b32_e32 v22, 0x7f800000, v24
	v_mov_b32_e32 v23, v43
	v_and_b32_e32 v42, 0x7fffff, v24
	v_or_b32_e32 v27, 0x7e, v44
	v_cmp_ne_u64_e32 vcc, s[36:37], v[22:23]
	s_and_saveexec_b64 s[18:19], vcc
	s_xor_b64 s[46:47], exec, s[18:19]
	s_cbranch_execz .LBB2_422
; %bb.413:                              ;   in Loop: Header=BB2_264 Depth=3
	v_and_b32_e32 v22, 0x7fffffff, v24
	v_mov_b32_e32 v23, v43
	v_cmp_gt_u64_e32 vcc, s[38:39], v[22:23]
	s_and_saveexec_b64 s[48:49], vcc
	s_cbranch_execz .LBB2_421
; %bb.414:                              ;   in Loop: Header=BB2_264 Depth=3
	v_cmp_ne_u32_e32 vcc, 0, v24
	v_mov_b32_e32 v27, 0
	s_and_saveexec_b64 s[50:51], vcc
	s_cbranch_execz .LBB2_420
; %bb.415:                              ;   in Loop: Header=BB2_264 Depth=3
	v_bfe_u32 v22, v24, 23, 8
	v_sub_u32_e32 v24, 0x79, v22
	v_cmp_gt_u32_e32 vcc, s63, v22
	v_cndmask_b32_e32 v24, 0, v24, vcc
	v_cmp_eq_u32_e32 vcc, 0, v22
	v_cndmask_b32_e32 v38, v24, v6, vcc
	v_add_u32_e32 v23, 0xffffff81, v22
	v_add_u32_e32 v22, 20, v38
	v_or_b32_e32 v25, 0x800000, v42
	v_cndmask_b32_e32 v27, v23, v30, vcc
	v_lshlrev_b64 v[22:23], v22, -1
	v_cndmask_b32_e32 v42, v25, v42, vcc
	v_not_b32_e32 v22, v22
	v_not_b32_e32 v23, v23
	v_and_b32_e32 v24, v42, v22
	v_add_u32_e32 v22, 19, v38
	v_lshrrev_b64 v[50:51], v38, v[42:43]
	v_and_b32_e32 v25, 0, v23
	v_lshlrev_b64 v[36:37], v22, 1
	v_bfe_u32 v23, v50, 20, 1
	v_add_u32_e32 v23, -1, v23
	v_cmp_eq_u64_e32 vcc, v[24:25], v[36:37]
	v_cndmask_b32_e32 v23, 0, v23, vcc
	v_add_u32_e32 v23, v23, v50
	v_lshrrev_b32_e32 v22, 23, v50
	v_and_b32_e32 v23, 0xfffff, v23
	v_add3_u32 v22, v38, v27, v22
	v_add_co_u32_e32 v24, vcc, v23, v50
	v_add_u32_e32 v42, 6, v22
	v_addc_co_u32_e32 v25, vcc, 0, v51, vcc
	v_cmp_ne_u32_e32 vcc, 0, v42
                                        ; implicit-def: $vgpr27
	s_and_saveexec_b64 s[18:19], vcc
	s_xor_b64 s[18:19], exec, s[18:19]
; %bb.416:                              ;   in Loop: Header=BB2_264 Depth=3
	v_add_u32_e32 v22, 7, v22
	v_cmp_lt_u64_e32 vcc, s[40:41], v[24:25]
	v_cndmask_b32_e32 v27, v42, v22, vcc
	v_cndmask_b32_e64 v22, 0, 1, vcc
	v_lshrrev_b64 v[24:25], v22, v[24:25]
; %bb.417:                              ;   in Loop: Header=BB2_264 Depth=3
	s_andn2_saveexec_b64 s[18:19], s[18:19]
; %bb.418:                              ;   in Loop: Header=BB2_264 Depth=3
	v_bfe_u32 v27, v24, 23, 1
; %bb.419:                              ;   in Loop: Header=BB2_264 Depth=3
	s_or_b64 exec, exec, s[18:19]
	v_lshrrev_b64 v[22:23], 20, v[24:25]
	v_cmp_gt_i32_e32 vcc, 16, v27
	v_cndmask_b32_e32 v23, 0, v23, vcc
	v_cndmask_b32_e32 v22, 7, v22, vcc
	v_cmp_eq_u64_e64 s[18:19], 0, v[22:23]
	v_min_i32_e32 v23, 15, v27
	v_lshlrev_b32_e32 v23, 3, v23
	v_cmp_eq_u32_e32 vcc, 0, v27
	v_and_b32_e32 v23, 0xf8, v23
	v_and_or_b32 v22, v22, 7, v23
	s_and_b64 s[18:19], vcc, s[18:19]
	v_cndmask_b32_e64 v22, v22, 0, s[18:19]
	v_or_b32_e32 v27, v22, v44
.LBB2_420:                              ;   in Loop: Header=BB2_264 Depth=3
	s_or_b64 exec, exec, s[50:51]
.LBB2_421:                              ;   in Loop: Header=BB2_264 Depth=3
	s_or_b64 exec, exec, s[48:49]
                                        ; implicit-def: $vgpr24
.LBB2_422:                              ;   in Loop: Header=BB2_264 Depth=3
	s_andn2_saveexec_b64 s[18:19], s[46:47]
; %bb.423:                              ;   in Loop: Header=BB2_264 Depth=3
	v_or_b32_sdwa v22, v24, s62 dst_sel:DWORD dst_unused:UNUSED_PAD src0_sel:BYTE_3 src1_sel:DWORD
	v_cmp_eq_u64_e32 vcc, 0, v[42:43]
	v_cndmask_b32_e32 v27, v22, v27, vcc
; %bb.424:                              ;   in Loop: Header=BB2_264 Depth=3
	s_or_b64 exec, exec, s[18:19]
	s_waitcnt vmcnt(0)
	v_cmp_ne_u16_sdwa vcc, v16, v43 src0_sel:BYTE_0 src1_sel:DWORD
	v_mov_b32_e32 v25, 0
	v_mov_b32_e32 v24, 0
	s_and_saveexec_b64 s[18:19], vcc
	s_cbranch_execz .LBB2_430
; %bb.425:                              ;   in Loop: Header=BB2_264 Depth=3
	v_cmp_ne_u16_sdwa vcc, v16, s61 src0_sel:BYTE_0 src1_sel:DWORD
	v_bfrev_b32_e32 v24, 1
	s_and_saveexec_b64 s[46:47], vcc
	s_cbranch_execz .LBB2_429
; %bb.426:                              ;   in Loop: Header=BB2_264 Depth=3
	v_and_b32_e32 v22, 0x7f, v16
	v_cmp_ne_u32_e32 vcc, s62, v22
	v_mov_b32_e32 v24, 0x7f800001
	s_and_saveexec_b64 s[48:49], vcc
	s_cbranch_execz .LBB2_428
; %bb.427:                              ;   in Loop: Header=BB2_264 Depth=3
	v_and_b32_e32 v23, 7, v16
	v_ffbh_u32_e32 v23, v23
	v_min_u32_e32 v23, 32, v23
	v_subrev_u32_e32 v36, 28, v23
	v_cmp_gt_u32_e32 vcc, 8, v22
	v_lshrrev_b32_e32 v24, 3, v22
	v_sub_u32_e32 v23, 29, v23
	v_cndmask_b32_e32 v22, 0, v36, vcc
	v_cndmask_b32_e32 v24, v24, v23, vcc
	v_lshlrev_b64 v[22:23], v22, v[16:17]
	v_lshlrev_b32_e32 v17, 20, v22
	v_lshlrev_b32_e32 v22, 24, v16
	v_and_b32_e32 v17, 0x700000, v17
	v_and_b32_e32 v22, 0x80000000, v22
	v_lshl_add_u32 v23, v24, 23, v47
	v_or3_b32 v24, v22, v23, v17
.LBB2_428:                              ;   in Loop: Header=BB2_264 Depth=3
	s_or_b64 exec, exec, s[48:49]
.LBB2_429:                              ;   in Loop: Header=BB2_264 Depth=3
	s_or_b64 exec, exec, s[46:47]
.LBB2_430:                              ;   in Loop: Header=BB2_264 Depth=3
	s_or_b64 exec, exec, s[18:19]
	v_lshlrev_b32_e32 v17, 8, v61
	v_cmp_ne_u16_sdwa vcc, v1, v43 src0_sel:BYTE_0 src1_sel:DWORD
	s_and_saveexec_b64 s[18:19], vcc
	s_cbranch_execz .LBB2_436
; %bb.431:                              ;   in Loop: Header=BB2_264 Depth=3
	v_cmp_ne_u16_sdwa vcc, v1, s61 src0_sel:BYTE_0 src1_sel:DWORD
	v_bfrev_b32_e32 v25, 1
	s_and_saveexec_b64 s[46:47], vcc
	s_cbranch_execz .LBB2_435
; %bb.432:                              ;   in Loop: Header=BB2_264 Depth=3
	v_and_b32_e32 v22, 0x7f, v1
	v_cmp_ne_u32_e32 vcc, s62, v22
	v_mov_b32_e32 v25, 0x7f800001
	s_and_saveexec_b64 s[48:49], vcc
	s_cbranch_execz .LBB2_434
; %bb.433:                              ;   in Loop: Header=BB2_264 Depth=3
	v_and_b32_e32 v23, 7, v1
	v_ffbh_u32_e32 v23, v23
	v_min_u32_e32 v23, 32, v23
	v_subrev_u32_e32 v37, 28, v23
	v_cmp_gt_u32_e32 vcc, 8, v22
	v_lshrrev_b32_e32 v25, 3, v22
	v_perm_b32 v36, v17, v1, s65
	v_sub_u32_e32 v23, 29, v23
	v_cndmask_b32_e32 v22, 0, v37, vcc
	v_cndmask_b32_e32 v25, v25, v23, vcc
	v_lshlrev_b64 v[22:23], v22, v[36:37]
	v_lshlrev_b32_e32 v22, 20, v22
	v_lshlrev_b32_e32 v1, 24, v1
	v_and_b32_e32 v22, 0x700000, v22
	v_and_b32_e32 v1, 0x80000000, v1
	v_lshl_add_u32 v23, v25, 23, v47
	v_or3_b32 v25, v1, v23, v22
.LBB2_434:                              ;   in Loop: Header=BB2_264 Depth=3
	s_or_b64 exec, exec, s[48:49]
.LBB2_435:                              ;   in Loop: Header=BB2_264 Depth=3
	s_or_b64 exec, exec, s[46:47]
.LBB2_436:                              ;   in Loop: Header=BB2_264 Depth=3
	s_or_b64 exec, exec, s[18:19]
	v_add_f32_e32 v24, v24, v25
	v_and_b32_sdwa v44, v24, s61 dst_sel:DWORD dst_unused:UNUSED_PAD src0_sel:BYTE_3 src1_sel:DWORD
	v_and_b32_e32 v22, 0x7f800000, v24
	v_mov_b32_e32 v23, v43
	v_and_b32_e32 v42, 0x7fffff, v24
	v_or_b32_e32 v1, 0x7e, v44
	v_cmp_ne_u64_e32 vcc, s[36:37], v[22:23]
	s_and_saveexec_b64 s[18:19], vcc
	s_xor_b64 s[46:47], exec, s[18:19]
	s_cbranch_execz .LBB2_446
; %bb.437:                              ;   in Loop: Header=BB2_264 Depth=3
	v_and_b32_e32 v22, 0x7fffffff, v24
	v_mov_b32_e32 v23, v43
	v_cmp_gt_u64_e32 vcc, s[38:39], v[22:23]
	s_and_saveexec_b64 s[48:49], vcc
	s_cbranch_execz .LBB2_445
; %bb.438:                              ;   in Loop: Header=BB2_264 Depth=3
	v_cmp_ne_u32_e32 vcc, 0, v24
	v_mov_b32_e32 v1, 0
	s_and_saveexec_b64 s[50:51], vcc
	s_cbranch_execz .LBB2_444
; %bb.439:                              ;   in Loop: Header=BB2_264 Depth=3
	v_bfe_u32 v1, v24, 23, 8
	v_sub_u32_e32 v23, 0x79, v1
	v_cmp_gt_u32_e32 vcc, s63, v1
	v_cndmask_b32_e32 v23, 0, v23, vcc
	v_cmp_eq_u32_e32 vcc, 0, v1
	v_add_u32_e32 v22, 0xffffff81, v1
	v_cndmask_b32_e32 v38, v23, v6, vcc
	v_cndmask_b32_e32 v1, v22, v30, vcc
	v_add_u32_e32 v22, 20, v38
	v_or_b32_e32 v24, 0x800000, v42
	v_lshlrev_b64 v[22:23], v22, -1
	v_cndmask_b32_e32 v42, v24, v42, vcc
	v_not_b32_e32 v22, v22
	v_and_b32_e32 v24, v42, v22
	v_add_u32_e32 v22, 19, v38
	v_lshrrev_b64 v[50:51], v38, v[42:43]
	v_not_b32_e32 v23, v23
	v_lshlrev_b64 v[36:37], v22, 1
	v_lshrrev_b32_e32 v22, 23, v50
	v_and_b32_e32 v25, 0, v23
	v_add3_u32 v22, v38, v1, v22
	v_bfe_u32 v1, v50, 20, 1
	v_add_u32_e32 v1, -1, v1
	v_cmp_eq_u64_e32 vcc, v[24:25], v[36:37]
	v_cndmask_b32_e32 v1, 0, v1, vcc
	v_add_u32_e32 v1, v1, v50
	v_and_b32_e32 v1, 0xfffff, v1
	v_add_co_u32_e32 v24, vcc, v1, v50
	v_add_u32_e32 v42, 6, v22
	v_addc_co_u32_e32 v25, vcc, 0, v51, vcc
	v_cmp_ne_u32_e32 vcc, 0, v42
                                        ; implicit-def: $vgpr1
	s_and_saveexec_b64 s[18:19], vcc
	s_xor_b64 s[18:19], exec, s[18:19]
; %bb.440:                              ;   in Loop: Header=BB2_264 Depth=3
	v_cmp_lt_u64_e32 vcc, s[40:41], v[24:25]
	v_add_u32_e32 v1, 7, v22
	v_cndmask_b32_e64 v22, 0, 1, vcc
	v_cndmask_b32_e32 v1, v42, v1, vcc
	v_lshrrev_b64 v[24:25], v22, v[24:25]
; %bb.441:                              ;   in Loop: Header=BB2_264 Depth=3
	s_andn2_saveexec_b64 s[18:19], s[18:19]
; %bb.442:                              ;   in Loop: Header=BB2_264 Depth=3
	v_bfe_u32 v1, v24, 23, 1
; %bb.443:                              ;   in Loop: Header=BB2_264 Depth=3
	s_or_b64 exec, exec, s[18:19]
	v_lshrrev_b64 v[22:23], 20, v[24:25]
	v_cmp_gt_i32_e32 vcc, 16, v1
	v_cndmask_b32_e32 v23, 0, v23, vcc
	v_cndmask_b32_e32 v22, 7, v22, vcc
	v_cmp_eq_u32_e32 vcc, 0, v1
	v_min_i32_e32 v1, 15, v1
	v_cmp_eq_u64_e64 s[18:19], 0, v[22:23]
	v_lshlrev_b32_e32 v1, 3, v1
	v_and_or_b32 v1, v22, 7, v1
	s_and_b64 s[18:19], vcc, s[18:19]
	v_cndmask_b32_e64 v1, v1, 0, s[18:19]
	v_or_b32_e32 v1, v1, v44
.LBB2_444:                              ;   in Loop: Header=BB2_264 Depth=3
	s_or_b64 exec, exec, s[50:51]
.LBB2_445:                              ;   in Loop: Header=BB2_264 Depth=3
	s_or_b64 exec, exec, s[48:49]
                                        ; implicit-def: $vgpr24
.LBB2_446:                              ;   in Loop: Header=BB2_264 Depth=3
	s_andn2_saveexec_b64 s[18:19], s[46:47]
; %bb.447:                              ;   in Loop: Header=BB2_264 Depth=3
	v_or_b32_sdwa v22, v24, s62 dst_sel:DWORD dst_unused:UNUSED_PAD src0_sel:BYTE_3 src1_sel:DWORD
	v_cmp_eq_u64_e32 vcc, 0, v[42:43]
	v_cndmask_b32_e32 v1, v22, v1, vcc
; %bb.448:                              ;   in Loop: Header=BB2_264 Depth=3
	s_or_b64 exec, exec, s[18:19]
	v_lshrrev_b16_e32 v24, 8, v16
	v_cmp_ne_u16_e32 vcc, 0, v24
	v_mov_b32_e32 v25, 0
	v_mov_b32_e32 v42, 0
	s_and_saveexec_b64 s[18:19], vcc
	s_cbranch_execz .LBB2_454
; %bb.449:                              ;   in Loop: Header=BB2_264 Depth=3
	v_cmp_ne_u16_e32 vcc, s61, v24
	v_bfrev_b32_e32 v42, 1
	s_and_saveexec_b64 s[46:47], vcc
	s_cbranch_execz .LBB2_453
; %bb.450:                              ;   in Loop: Header=BB2_264 Depth=3
	v_and_b32_e32 v22, 0x7f, v24
	v_cmp_ne_u32_e32 vcc, s62, v22
	v_mov_b32_e32 v42, 0x7f800001
	s_and_saveexec_b64 s[48:49], vcc
	s_cbranch_execz .LBB2_452
; %bb.451:                              ;   in Loop: Header=BB2_264 Depth=3
	v_and_b32_e32 v23, 7, v24
	v_ffbh_u32_e32 v36, v23
	v_min_u32_e32 v39, 32, v36
	v_subrev_u32_e32 v36, 28, v39
	v_lshlrev_b64 v[36:37], v36, v[24:25]
	v_lshrrev_b32_e32 v38, 3, v22
	v_sub_u32_e32 v24, 29, v39
	v_and_b32_e32 v36, 7, v36
	v_cmp_gt_u32_e32 vcc, 8, v22
	v_cndmask_b32_e32 v22, v38, v24, vcc
	v_cndmask_b32_e32 v23, v23, v36, vcc
	v_lshlrev_b32_e32 v24, 16, v16
	v_lshlrev_b32_e32 v23, 20, v23
	v_and_b32_e32 v24, 0x80000000, v24
	v_lshl_add_u32 v22, v22, 23, v47
	v_or3_b32 v42, v24, v22, v23
.LBB2_452:                              ;   in Loop: Header=BB2_264 Depth=3
	s_or_b64 exec, exec, s[48:49]
.LBB2_453:                              ;   in Loop: Header=BB2_264 Depth=3
	s_or_b64 exec, exec, s[46:47]
.LBB2_454:                              ;   in Loop: Header=BB2_264 Depth=3
	s_or_b64 exec, exec, s[18:19]
	v_lshrrev_b16_e32 v24, 8, v17
	v_cmp_ne_u16_e32 vcc, 0, v24
	s_and_saveexec_b64 s[18:19], vcc
	s_cbranch_execz .LBB2_460
; %bb.455:                              ;   in Loop: Header=BB2_264 Depth=3
	v_cmp_ne_u16_e32 vcc, s61, v24
	v_bfrev_b32_e32 v25, 1
	s_and_saveexec_b64 s[46:47], vcc
	s_cbranch_execz .LBB2_459
; %bb.456:                              ;   in Loop: Header=BB2_264 Depth=3
	v_and_b32_e32 v22, 0x7f, v24
	v_cmp_ne_u32_e32 vcc, s62, v22
	v_mov_b32_e32 v25, 0x7f800001
	s_and_saveexec_b64 s[48:49], vcc
	s_cbranch_execz .LBB2_458
; %bb.457:                              ;   in Loop: Header=BB2_264 Depth=3
	v_and_b32_e32 v23, 7, v24
	v_ffbh_u32_e32 v25, v23
	v_min_u32_e32 v37, 32, v25
	v_subrev_u32_e32 v25, 28, v37
	v_lshlrev_b64 v[24:25], v25, v[24:25]
	v_lshrrev_b32_e32 v36, 3, v22
	v_sub_u32_e32 v25, 29, v37
	v_and_b32_e32 v24, 7, v24
	v_cmp_gt_u32_e32 vcc, 8, v22
	v_cndmask_b32_e32 v22, v36, v25, vcc
	v_cndmask_b32_e32 v23, v23, v24, vcc
	v_lshlrev_b32_e32 v17, 16, v17
	v_lshlrev_b32_e32 v23, 20, v23
	v_and_b32_e32 v17, 0x80000000, v17
	v_lshl_add_u32 v22, v22, 23, v47
	v_or3_b32 v25, v17, v22, v23
.LBB2_458:                              ;   in Loop: Header=BB2_264 Depth=3
	s_or_b64 exec, exec, s[48:49]
.LBB2_459:                              ;   in Loop: Header=BB2_264 Depth=3
	s_or_b64 exec, exec, s[46:47]
.LBB2_460:                              ;   in Loop: Header=BB2_264 Depth=3
	s_or_b64 exec, exec, s[18:19]
	v_add_f32_e32 v24, v42, v25
	v_and_b32_sdwa v17, v24, s61 dst_sel:DWORD dst_unused:UNUSED_PAD src0_sel:BYTE_3 src1_sel:DWORD
	v_and_b32_e32 v22, 0x7f800000, v24
	v_mov_b32_e32 v23, v43
	v_and_b32_e32 v42, 0x7fffff, v24
	v_or_b32_e32 v61, 0x7e, v17
	v_cmp_ne_u64_e32 vcc, s[36:37], v[22:23]
	s_and_saveexec_b64 s[18:19], vcc
	s_xor_b64 s[46:47], exec, s[18:19]
	s_cbranch_execz .LBB2_470
; %bb.461:                              ;   in Loop: Header=BB2_264 Depth=3
	v_and_b32_e32 v22, 0x7fffffff, v24
	v_mov_b32_e32 v23, v43
	v_cmp_gt_u64_e32 vcc, s[38:39], v[22:23]
	s_and_saveexec_b64 s[48:49], vcc
	s_cbranch_execz .LBB2_469
; %bb.462:                              ;   in Loop: Header=BB2_264 Depth=3
	v_cmp_ne_u32_e32 vcc, 0, v24
	v_mov_b32_e32 v61, 0
	s_and_saveexec_b64 s[50:51], vcc
	s_cbranch_execz .LBB2_468
; %bb.463:                              ;   in Loop: Header=BB2_264 Depth=3
	v_bfe_u32 v22, v24, 23, 8
	v_sub_u32_e32 v24, 0x79, v22
	v_cmp_gt_u32_e32 vcc, s63, v22
	v_cndmask_b32_e32 v24, 0, v24, vcc
	v_cmp_eq_u32_e32 vcc, 0, v22
	v_cndmask_b32_e32 v39, v24, v6, vcc
	v_add_u32_e32 v23, 0xffffff81, v22
	v_add_u32_e32 v22, 20, v39
	v_or_b32_e32 v25, 0x800000, v42
	v_cndmask_b32_e32 v38, v23, v30, vcc
	v_lshlrev_b64 v[22:23], v22, -1
	v_cndmask_b32_e32 v42, v25, v42, vcc
	v_not_b32_e32 v22, v22
	v_not_b32_e32 v23, v23
	v_and_b32_e32 v24, v42, v22
	v_add_u32_e32 v22, 19, v39
	v_lshrrev_b64 v[50:51], v39, v[42:43]
	v_and_b32_e32 v25, 0, v23
	v_lshlrev_b64 v[36:37], v22, 1
	v_bfe_u32 v23, v50, 20, 1
	v_add_u32_e32 v23, -1, v23
	v_cmp_eq_u64_e32 vcc, v[24:25], v[36:37]
	v_cndmask_b32_e32 v23, 0, v23, vcc
	v_add_u32_e32 v23, v23, v50
	v_lshrrev_b32_e32 v22, 23, v50
	v_and_b32_e32 v23, 0xfffff, v23
	v_add3_u32 v22, v39, v38, v22
	v_add_co_u32_e32 v24, vcc, v23, v50
	v_add_u32_e32 v44, 6, v22
	v_addc_co_u32_e32 v25, vcc, 0, v51, vcc
	v_cmp_ne_u32_e32 vcc, 0, v44
                                        ; implicit-def: $vgpr42
	s_and_saveexec_b64 s[18:19], vcc
	s_xor_b64 s[18:19], exec, s[18:19]
; %bb.464:                              ;   in Loop: Header=BB2_264 Depth=3
	v_add_u32_e32 v22, 7, v22
	v_cmp_lt_u64_e32 vcc, s[40:41], v[24:25]
	v_cndmask_b32_e32 v42, v44, v22, vcc
	v_cndmask_b32_e64 v22, 0, 1, vcc
	v_lshrrev_b64 v[24:25], v22, v[24:25]
; %bb.465:                              ;   in Loop: Header=BB2_264 Depth=3
	s_andn2_saveexec_b64 s[18:19], s[18:19]
; %bb.466:                              ;   in Loop: Header=BB2_264 Depth=3
	v_bfe_u32 v42, v24, 23, 1
; %bb.467:                              ;   in Loop: Header=BB2_264 Depth=3
	s_or_b64 exec, exec, s[18:19]
	v_lshrrev_b64 v[22:23], 20, v[24:25]
	v_cmp_gt_i32_e32 vcc, 16, v42
	v_cndmask_b32_e32 v23, 0, v23, vcc
	v_cndmask_b32_e32 v22, 7, v22, vcc
	v_cmp_eq_u64_e64 s[18:19], 0, v[22:23]
	v_min_i32_e32 v23, 15, v42
	v_cmp_eq_u32_e32 vcc, 0, v42
	v_lshlrev_b32_e32 v23, 3, v23
	v_and_or_b32 v22, v22, 7, v23
	s_and_b64 s[18:19], vcc, s[18:19]
	v_cndmask_b32_e64 v22, v22, 0, s[18:19]
	v_or_b32_e32 v61, v22, v17
.LBB2_468:                              ;   in Loop: Header=BB2_264 Depth=3
	s_or_b64 exec, exec, s[50:51]
.LBB2_469:                              ;   in Loop: Header=BB2_264 Depth=3
	s_or_b64 exec, exec, s[48:49]
                                        ; implicit-def: $vgpr24
.LBB2_470:                              ;   in Loop: Header=BB2_264 Depth=3
	s_andn2_saveexec_b64 s[18:19], s[46:47]
; %bb.471:                              ;   in Loop: Header=BB2_264 Depth=3
	v_or_b32_sdwa v17, v24, s62 dst_sel:DWORD dst_unused:UNUSED_PAD src0_sel:BYTE_3 src1_sel:DWORD
	v_cmp_eq_u64_e32 vcc, 0, v[42:43]
	v_cndmask_b32_e32 v61, v17, v61, vcc
; %bb.472:                              ;   in Loop: Header=BB2_264 Depth=3
	s_or_b64 exec, exec, s[18:19]
	v_lshrrev_b32_e32 v24, 16, v16
	v_cmp_ne_u16_sdwa vcc, v24, v43 src0_sel:BYTE_0 src1_sel:DWORD
	v_mov_b32_e32 v17, 0
	v_mov_b32_e32 v25, 0
	s_and_saveexec_b64 s[18:19], vcc
	s_cbranch_execz .LBB2_478
; %bb.473:                              ;   in Loop: Header=BB2_264 Depth=3
	v_cmp_ne_u16_sdwa vcc, v24, s61 src0_sel:BYTE_0 src1_sel:DWORD
	v_bfrev_b32_e32 v25, 1
	s_and_saveexec_b64 s[46:47], vcc
	s_cbranch_execz .LBB2_477
; %bb.474:                              ;   in Loop: Header=BB2_264 Depth=3
	v_bfe_u32 v22, v16, 16, 7
	v_cmp_ne_u32_e32 vcc, s62, v22
	v_mov_b32_e32 v25, 0x7f800001
	s_and_saveexec_b64 s[48:49], vcc
	s_cbranch_execz .LBB2_476
; %bb.475:                              ;   in Loop: Header=BB2_264 Depth=3
	v_and_b32_e32 v23, 7, v24
	v_ffbh_u32_e32 v36, v23
	v_min_u32_e32 v38, 32, v36
	v_lshrrev_b32_e32 v25, 3, v22
	v_subrev_u32_e32 v36, 28, v38
	v_lshlrev_b64 v[36:37], v36, v[24:25]
	v_sub_u32_e32 v37, 29, v38
	v_and_b32_e32 v36, 7, v36
	v_cmp_gt_u32_e32 vcc, 8, v22
	v_cndmask_b32_e32 v22, v25, v37, vcc
	v_cndmask_b32_e32 v23, v23, v36, vcc
	v_lshlrev_b32_e32 v24, 24, v24
	v_lshlrev_b32_e32 v23, 20, v23
	v_and_b32_e32 v24, 0x80000000, v24
	v_lshl_add_u32 v22, v22, 23, v47
	v_or3_b32 v25, v24, v22, v23
.LBB2_476:                              ;   in Loop: Header=BB2_264 Depth=3
	s_or_b64 exec, exec, s[48:49]
.LBB2_477:                              ;   in Loop: Header=BB2_264 Depth=3
	s_or_b64 exec, exec, s[46:47]
.LBB2_478:                              ;   in Loop: Header=BB2_264 Depth=3
	s_or_b64 exec, exec, s[18:19]
	v_cmp_ne_u16_sdwa vcc, v2, v43 src0_sel:BYTE_0 src1_sel:DWORD
	s_and_saveexec_b64 s[18:19], vcc
	s_cbranch_execz .LBB2_484
; %bb.479:                              ;   in Loop: Header=BB2_264 Depth=3
	v_cmp_ne_u16_sdwa vcc, v2, s61 src0_sel:BYTE_0 src1_sel:DWORD
	v_bfrev_b32_e32 v17, 1
	s_and_saveexec_b64 s[46:47], vcc
	s_cbranch_execz .LBB2_483
; %bb.480:                              ;   in Loop: Header=BB2_264 Depth=3
	v_and_b32_e32 v22, 0x7f, v2
	v_cmp_ne_u32_e32 vcc, s62, v22
	v_mov_b32_e32 v17, 0x7f800001
	s_and_saveexec_b64 s[48:49], vcc
	s_cbranch_execz .LBB2_482
; %bb.481:                              ;   in Loop: Header=BB2_264 Depth=3
	v_and_b32_e32 v17, 7, v2
	v_ffbh_u32_e32 v24, v17
	v_min_u32_e32 v24, 32, v24
	v_subrev_u32_e32 v36, 28, v24
	v_lshlrev_b64 v[36:37], v36, v[2:3]
	v_lshrrev_b32_e32 v23, 3, v22
	v_sub_u32_e32 v24, 29, v24
	v_and_b32_e32 v36, 7, v36
	v_cmp_gt_u32_e32 vcc, 8, v22
	v_cndmask_b32_e32 v22, v23, v24, vcc
	v_cndmask_b32_e32 v17, v17, v36, vcc
	v_lshlrev_b32_e32 v2, 24, v2
	v_lshlrev_b32_e32 v17, 20, v17
	v_and_b32_e32 v2, 0x80000000, v2
	v_lshl_add_u32 v22, v22, 23, v47
	v_or3_b32 v17, v2, v22, v17
.LBB2_482:                              ;   in Loop: Header=BB2_264 Depth=3
	s_or_b64 exec, exec, s[48:49]
.LBB2_483:                              ;   in Loop: Header=BB2_264 Depth=3
	s_or_b64 exec, exec, s[46:47]
.LBB2_484:                              ;   in Loop: Header=BB2_264 Depth=3
	s_or_b64 exec, exec, s[18:19]
	v_add_f32_e32 v17, v25, v17
	v_and_b32_sdwa v2, v17, s61 dst_sel:DWORD dst_unused:UNUSED_PAD src0_sel:BYTE_3 src1_sel:DWORD
	v_and_b32_e32 v22, 0x7f800000, v17
	v_mov_b32_e32 v23, v43
	v_and_b32_e32 v42, 0x7fffff, v17
	v_or_b32_e32 v24, 0x7e, v2
	v_cmp_ne_u64_e32 vcc, s[36:37], v[22:23]
	s_and_saveexec_b64 s[18:19], vcc
	s_xor_b64 s[46:47], exec, s[18:19]
	s_cbranch_execz .LBB2_494
; %bb.485:                              ;   in Loop: Header=BB2_264 Depth=3
	v_and_b32_e32 v22, 0x7fffffff, v17
	v_mov_b32_e32 v23, v43
	v_cmp_gt_u64_e32 vcc, s[38:39], v[22:23]
	s_and_saveexec_b64 s[48:49], vcc
	s_cbranch_execz .LBB2_493
; %bb.486:                              ;   in Loop: Header=BB2_264 Depth=3
	v_cmp_ne_u32_e32 vcc, 0, v17
	v_mov_b32_e32 v24, 0
	s_and_saveexec_b64 s[50:51], vcc
	s_cbranch_execz .LBB2_492
; %bb.487:                              ;   in Loop: Header=BB2_264 Depth=3
	v_bfe_u32 v17, v17, 23, 8
	v_sub_u32_e32 v23, 0x79, v17
	v_cmp_gt_u32_e32 vcc, s63, v17
	v_cndmask_b32_e32 v23, 0, v23, vcc
	v_cmp_eq_u32_e32 vcc, 0, v17
	v_add_u32_e32 v22, 0xffffff81, v17
	v_cndmask_b32_e32 v38, v23, v6, vcc
	v_cndmask_b32_e32 v17, v22, v30, vcc
	v_add_u32_e32 v22, 20, v38
	v_or_b32_e32 v24, 0x800000, v42
	v_lshlrev_b64 v[22:23], v22, -1
	v_cndmask_b32_e32 v42, v24, v42, vcc
	v_not_b32_e32 v22, v22
	v_and_b32_e32 v24, v42, v22
	v_add_u32_e32 v22, 19, v38
	v_lshrrev_b64 v[50:51], v38, v[42:43]
	v_not_b32_e32 v23, v23
	v_lshlrev_b64 v[36:37], v22, 1
	v_lshrrev_b32_e32 v22, 23, v50
	v_and_b32_e32 v25, 0, v23
	v_add3_u32 v22, v38, v17, v22
	v_bfe_u32 v17, v50, 20, 1
	v_add_u32_e32 v17, -1, v17
	v_cmp_eq_u64_e32 vcc, v[24:25], v[36:37]
	v_cndmask_b32_e32 v17, 0, v17, vcc
	v_add_u32_e32 v17, v17, v50
	v_and_b32_e32 v17, 0xfffff, v17
	v_add_co_u32_e32 v24, vcc, v17, v50
	v_add_u32_e32 v42, 6, v22
	v_addc_co_u32_e32 v25, vcc, 0, v51, vcc
	v_cmp_ne_u32_e32 vcc, 0, v42
                                        ; implicit-def: $vgpr17
	s_and_saveexec_b64 s[18:19], vcc
	s_xor_b64 s[18:19], exec, s[18:19]
; %bb.488:                              ;   in Loop: Header=BB2_264 Depth=3
	v_cmp_lt_u64_e32 vcc, s[40:41], v[24:25]
	v_add_u32_e32 v17, 7, v22
	v_cndmask_b32_e64 v22, 0, 1, vcc
	v_cndmask_b32_e32 v17, v42, v17, vcc
	v_lshrrev_b64 v[24:25], v22, v[24:25]
; %bb.489:                              ;   in Loop: Header=BB2_264 Depth=3
	s_andn2_saveexec_b64 s[18:19], s[18:19]
; %bb.490:                              ;   in Loop: Header=BB2_264 Depth=3
	v_bfe_u32 v17, v24, 23, 1
; %bb.491:                              ;   in Loop: Header=BB2_264 Depth=3
	s_or_b64 exec, exec, s[18:19]
	v_lshrrev_b64 v[22:23], 20, v[24:25]
	v_cmp_gt_i32_e32 vcc, 16, v17
	v_cndmask_b32_e32 v23, 0, v23, vcc
	v_cndmask_b32_e32 v22, 7, v22, vcc
	v_cmp_eq_u32_e32 vcc, 0, v17
	v_min_i32_e32 v17, 15, v17
	v_cmp_eq_u64_e64 s[18:19], 0, v[22:23]
	v_lshlrev_b32_e32 v17, 3, v17
	v_and_or_b32 v17, v22, 7, v17
	s_and_b64 s[18:19], vcc, s[18:19]
	v_cndmask_b32_e64 v17, v17, 0, s[18:19]
	v_or_b32_e32 v24, v17, v2
.LBB2_492:                              ;   in Loop: Header=BB2_264 Depth=3
	s_or_b64 exec, exec, s[50:51]
.LBB2_493:                              ;   in Loop: Header=BB2_264 Depth=3
	s_or_b64 exec, exec, s[48:49]
                                        ; implicit-def: $vgpr17
.LBB2_494:                              ;   in Loop: Header=BB2_264 Depth=3
	s_andn2_saveexec_b64 s[18:19], s[46:47]
; %bb.495:                              ;   in Loop: Header=BB2_264 Depth=3
	v_or_b32_sdwa v2, v17, s62 dst_sel:DWORD dst_unused:UNUSED_PAD src0_sel:BYTE_3 src1_sel:DWORD
	v_cmp_eq_u64_e32 vcc, 0, v[42:43]
	v_cndmask_b32_e32 v24, v2, v24, vcc
; %bb.496:                              ;   in Loop: Header=BB2_264 Depth=3
	s_or_b64 exec, exec, s[18:19]
	v_cmp_lt_u32_e32 vcc, s64, v16
	v_mov_b32_e32 v17, 0
	v_mov_b32_e32 v25, 0
	s_and_saveexec_b64 s[18:19], vcc
	s_cbranch_execz .LBB2_502
; %bb.497:                              ;   in Loop: Header=BB2_264 Depth=3
	v_lshrrev_b32_e32 v2, 24, v16
	v_cmp_ne_u32_e32 vcc, s61, v2
	v_bfrev_b32_e32 v25, 1
	s_and_saveexec_b64 s[46:47], vcc
	s_cbranch_execz .LBB2_501
; %bb.498:                              ;   in Loop: Header=BB2_264 Depth=3
	v_bfe_u32 v16, v16, 24, 7
	v_cmp_ne_u32_e32 vcc, s62, v16
	v_mov_b32_e32 v25, 0x7f800001
	s_and_saveexec_b64 s[48:49], vcc
	s_cbranch_execz .LBB2_500
; %bb.499:                              ;   in Loop: Header=BB2_264 Depth=3
	v_and_b32_e32 v25, 7, v2
	v_ffbh_u32_e32 v22, v25
	v_min_u32_e32 v37, 32, v22
	v_subrev_u32_e32 v22, 28, v37
	v_lshlrev_b64 v[22:23], v22, v[2:3]
	v_lshrrev_b32_e32 v36, 3, v16
	v_sub_u32_e32 v23, 29, v37
	v_and_b32_e32 v22, 7, v22
	v_cmp_gt_u32_e32 vcc, 8, v16
	v_cndmask_b32_e32 v16, v36, v23, vcc
	v_cndmask_b32_e32 v22, v25, v22, vcc
	v_lshlrev_b32_e32 v2, 24, v2
	v_lshlrev_b32_e32 v22, 20, v22
	v_and_b32_e32 v2, 0x80000000, v2
	v_lshl_add_u32 v16, v16, 23, v47
	v_or3_b32 v25, v2, v16, v22
.LBB2_500:                              ;   in Loop: Header=BB2_264 Depth=3
	s_or_b64 exec, exec, s[48:49]
.LBB2_501:                              ;   in Loop: Header=BB2_264 Depth=3
	s_or_b64 exec, exec, s[46:47]
.LBB2_502:                              ;   in Loop: Header=BB2_264 Depth=3
	s_or_b64 exec, exec, s[18:19]
	v_lshlrev_b32_e32 v2, 8, v60
	v_and_b32_e32 v2, 0xff00, v2
	v_cmp_ne_u32_e32 vcc, 0, v2
	s_and_saveexec_b64 s[18:19], vcc
	s_cbranch_execz .LBB2_508
; %bb.503:                              ;   in Loop: Header=BB2_264 Depth=3
	v_cmp_ne_u32_e32 vcc, s68, v2
	v_bfrev_b32_e32 v17, 1
	s_and_saveexec_b64 s[46:47], vcc
	s_cbranch_execz .LBB2_507
; %bb.504:                              ;   in Loop: Header=BB2_264 Depth=3
	v_bfe_u32 v16, v2, 8, 7
	v_cmp_ne_u32_e32 vcc, s62, v16
	v_mov_b32_e32 v17, 0x7f800001
	s_and_saveexec_b64 s[48:49], vcc
	s_cbranch_execz .LBB2_506
; %bb.505:                              ;   in Loop: Header=BB2_264 Depth=3
	v_lshrrev_b32_e32 v22, 8, v2
	v_and_b32_e32 v17, 7, v22
	v_ffbh_u32_e32 v23, v17
	v_min_u32_e32 v37, 32, v23
	v_subrev_u32_e32 v23, 28, v37
	v_lshlrev_b64 v[22:23], v23, v[22:23]
	v_lshrrev_b32_e32 v36, 3, v16
	v_sub_u32_e32 v23, 29, v37
	v_and_b32_e32 v22, 7, v22
	v_cmp_gt_u32_e32 vcc, 8, v16
	v_cndmask_b32_e32 v16, v36, v23, vcc
	v_cndmask_b32_e32 v17, v17, v22, vcc
	v_lshlrev_b32_e32 v2, 16, v2
	v_lshlrev_b32_e32 v17, 20, v17
	v_and_b32_e32 v2, 0x80000000, v2
	v_lshl_add_u32 v16, v16, 23, v47
	v_or3_b32 v17, v2, v16, v17
.LBB2_506:                              ;   in Loop: Header=BB2_264 Depth=3
	s_or_b64 exec, exec, s[48:49]
.LBB2_507:                              ;   in Loop: Header=BB2_264 Depth=3
	s_or_b64 exec, exec, s[46:47]
.LBB2_508:                              ;   in Loop: Header=BB2_264 Depth=3
	s_or_b64 exec, exec, s[18:19]
	v_add_f32_e32 v16, v25, v17
	v_and_b32_sdwa v2, v16, s61 dst_sel:DWORD dst_unused:UNUSED_PAD src0_sel:BYTE_3 src1_sel:DWORD
	v_and_b32_e32 v22, 0x7f800000, v16
	v_mov_b32_e32 v23, v43
	v_and_b32_e32 v42, 0x7fffff, v16
	v_or_b32_e32 v25, 0x7e, v2
	v_cmp_ne_u64_e32 vcc, s[36:37], v[22:23]
	s_and_saveexec_b64 s[18:19], vcc
	s_xor_b64 s[46:47], exec, s[18:19]
	s_cbranch_execz .LBB2_518
; %bb.509:                              ;   in Loop: Header=BB2_264 Depth=3
	v_and_b32_e32 v22, 0x7fffffff, v16
	v_mov_b32_e32 v23, v43
	v_cmp_gt_u64_e32 vcc, s[38:39], v[22:23]
	s_and_saveexec_b64 s[48:49], vcc
	s_cbranch_execz .LBB2_517
; %bb.510:                              ;   in Loop: Header=BB2_264 Depth=3
	v_cmp_ne_u32_e32 vcc, 0, v16
	v_mov_b32_e32 v25, 0
	s_and_saveexec_b64 s[50:51], vcc
	s_cbranch_execz .LBB2_516
; %bb.511:                              ;   in Loop: Header=BB2_264 Depth=3
	v_bfe_u32 v16, v16, 23, 8
	v_sub_u32_e32 v22, 0x79, v16
	v_cmp_gt_u32_e32 vcc, s63, v16
	v_cndmask_b32_e32 v22, 0, v22, vcc
	v_cmp_eq_u32_e32 vcc, 0, v16
	v_or_b32_e32 v23, 0x800000, v42
	v_cndmask_b32_e32 v22, v22, v6, vcc
	v_add_u32_e32 v17, 0xffffff81, v16
	v_cndmask_b32_e32 v42, v23, v42, vcc
	v_add_u32_e32 v16, 20, v22
	v_cndmask_b32_e32 v25, v17, v30, vcc
	v_lshlrev_b64 v[16:17], v16, -1
	v_add_u32_e32 v23, 19, v22
	v_lshrrev_b64 v[50:51], v22, v[42:43]
	v_not_b32_e32 v17, v17
	v_not_b32_e32 v16, v16
	v_lshlrev_b64 v[36:37], v23, 1
	v_lshrrev_b32_e32 v23, 23, v50
	v_and_b32_e32 v17, 0, v17
	v_and_b32_e32 v16, v42, v16
	v_add3_u32 v22, v22, v25, v23
	v_bfe_u32 v23, v50, 20, 1
	v_add_u32_e32 v23, -1, v23
	v_cmp_eq_u64_e32 vcc, v[16:17], v[36:37]
	v_cndmask_b32_e32 v16, 0, v23, vcc
	v_add_u32_e32 v16, v16, v50
	v_and_b32_e32 v16, 0xfffff, v16
	v_add_co_u32_e32 v16, vcc, v16, v50
	v_add_u32_e32 v42, 6, v22
	v_addc_co_u32_e32 v17, vcc, 0, v51, vcc
	v_cmp_ne_u32_e32 vcc, 0, v42
                                        ; implicit-def: $vgpr25
	s_and_saveexec_b64 s[18:19], vcc
	s_xor_b64 s[18:19], exec, s[18:19]
; %bb.512:                              ;   in Loop: Header=BB2_264 Depth=3
	v_add_u32_e32 v22, 7, v22
	v_cmp_lt_u64_e32 vcc, s[40:41], v[16:17]
	v_cndmask_b32_e32 v25, v42, v22, vcc
	v_cndmask_b32_e64 v22, 0, 1, vcc
	v_lshrrev_b64 v[16:17], v22, v[16:17]
; %bb.513:                              ;   in Loop: Header=BB2_264 Depth=3
	s_andn2_saveexec_b64 s[18:19], s[18:19]
; %bb.514:                              ;   in Loop: Header=BB2_264 Depth=3
	v_bfe_u32 v25, v16, 23, 1
; %bb.515:                              ;   in Loop: Header=BB2_264 Depth=3
	s_or_b64 exec, exec, s[18:19]
	v_lshrrev_b64 v[16:17], 20, v[16:17]
	v_cmp_gt_i32_e32 vcc, 16, v25
	v_cndmask_b32_e32 v17, 0, v17, vcc
	v_cndmask_b32_e32 v16, 7, v16, vcc
	v_cmp_eq_u64_e64 s[18:19], 0, v[16:17]
	v_min_i32_e32 v17, 15, v25
	v_cmp_eq_u32_e32 vcc, 0, v25
	v_lshlrev_b32_e32 v17, 3, v17
	v_and_or_b32 v16, v16, 7, v17
	s_and_b64 s[18:19], vcc, s[18:19]
	v_cndmask_b32_e64 v16, v16, 0, s[18:19]
	v_or_b32_e32 v25, v16, v2
.LBB2_516:                              ;   in Loop: Header=BB2_264 Depth=3
	s_or_b64 exec, exec, s[50:51]
.LBB2_517:                              ;   in Loop: Header=BB2_264 Depth=3
	s_or_b64 exec, exec, s[48:49]
                                        ; implicit-def: $vgpr16
.LBB2_518:                              ;   in Loop: Header=BB2_264 Depth=3
	s_andn2_saveexec_b64 s[18:19], s[46:47]
; %bb.519:                              ;   in Loop: Header=BB2_264 Depth=3
	v_or_b32_sdwa v2, v16, s62 dst_sel:DWORD dst_unused:UNUSED_PAD src0_sel:BYTE_3 src1_sel:DWORD
	v_cmp_eq_u64_e32 vcc, 0, v[42:43]
	v_cndmask_b32_e32 v25, v2, v25, vcc
; %bb.520:                              ;   in Loop: Header=BB2_264 Depth=3
	s_or_b64 exec, exec, s[18:19]
	v_cmp_ne_u16_sdwa vcc, v18, v43 src0_sel:BYTE_0 src1_sel:DWORD
	v_mov_b32_e32 v2, 0
	v_mov_b32_e32 v16, 0
	s_and_saveexec_b64 s[18:19], vcc
	s_cbranch_execz .LBB2_526
; %bb.521:                              ;   in Loop: Header=BB2_264 Depth=3
	v_cmp_ne_u16_sdwa vcc, v18, s61 src0_sel:BYTE_0 src1_sel:DWORD
	v_bfrev_b32_e32 v16, 1
	s_and_saveexec_b64 s[46:47], vcc
	s_cbranch_execz .LBB2_525
; %bb.522:                              ;   in Loop: Header=BB2_264 Depth=3
	v_and_b32_e32 v17, 0x7f, v18
	v_cmp_ne_u32_e32 vcc, s62, v17
	v_mov_b32_e32 v16, 0x7f800001
	s_and_saveexec_b64 s[48:49], vcc
	s_cbranch_execz .LBB2_524
; %bb.523:                              ;   in Loop: Header=BB2_264 Depth=3
	v_and_b32_e32 v16, 7, v18
	v_ffbh_u32_e32 v16, v16
	v_min_u32_e32 v16, 32, v16
	v_lshrrev_b32_e32 v22, 3, v17
	v_subrev_u32_e32 v23, 28, v16
	v_sub_u32_e32 v16, 29, v16
	v_cmp_gt_u32_e32 vcc, 8, v17
	v_cndmask_b32_e32 v22, v22, v16, vcc
	v_cndmask_b32_e32 v16, 0, v23, vcc
	v_lshlrev_b64 v[16:17], v16, v[18:19]
	v_lshlrev_b32_e32 v16, 20, v16
	v_lshlrev_b32_e32 v17, 24, v18
	v_and_b32_e32 v16, 0x700000, v16
	v_and_b32_e32 v17, 0x80000000, v17
	v_lshl_add_u32 v19, v22, 23, v47
	v_or3_b32 v16, v17, v19, v16
.LBB2_524:                              ;   in Loop: Header=BB2_264 Depth=3
	s_or_b64 exec, exec, s[48:49]
.LBB2_525:                              ;   in Loop: Header=BB2_264 Depth=3
	s_or_b64 exec, exec, s[46:47]
.LBB2_526:                              ;   in Loop: Header=BB2_264 Depth=3
	s_or_b64 exec, exec, s[18:19]
	v_lshlrev_b32_e32 v31, 8, v31
	v_lshlrev_b32_e32 v17, 24, v27
	v_perm_b32 v19, v26, v33, s69
	v_or3_b32 v42, v19, v17, v31
	v_cmp_ne_u16_sdwa vcc, v33, v43 src0_sel:BYTE_0 src1_sel:DWORD
	s_and_saveexec_b64 s[18:19], vcc
	s_cbranch_execz .LBB2_532
; %bb.527:                              ;   in Loop: Header=BB2_264 Depth=3
	v_cmp_ne_u16_sdwa vcc, v33, s61 src0_sel:BYTE_0 src1_sel:DWORD
	v_bfrev_b32_e32 v2, 1
	s_and_saveexec_b64 s[46:47], vcc
	s_cbranch_execz .LBB2_531
; %bb.528:                              ;   in Loop: Header=BB2_264 Depth=3
	v_and_b32_e32 v17, 0x7f, v33
	v_cmp_ne_u32_e32 vcc, s62, v17
	v_mov_b32_e32 v2, 0x7f800001
	s_and_saveexec_b64 s[48:49], vcc
	s_cbranch_execz .LBB2_530
; %bb.529:                              ;   in Loop: Header=BB2_264 Depth=3
	v_and_b32_e32 v2, 7, v33
	v_ffbh_u32_e32 v2, v2
	v_min_u32_e32 v2, 32, v2
	v_subrev_u32_e32 v22, 28, v2
	v_cmp_gt_u32_e32 vcc, 8, v17
	v_lshrrev_b32_e32 v19, 3, v17
	v_cndmask_b32_e32 v17, 0, v22, vcc
	v_sub_u32_e32 v2, 29, v2
	v_lshlrev_b64 v[22:23], v17, v[42:43]
	v_cndmask_b32_e32 v2, v19, v2, vcc
	v_lshlrev_b32_e32 v17, 20, v22
	v_lshlrev_b32_e32 v19, 24, v42
	v_and_b32_e32 v17, 0x700000, v17
	v_and_b32_e32 v19, 0x80000000, v19
	v_lshl_add_u32 v2, v2, 23, v47
	v_or3_b32 v2, v19, v2, v17
.LBB2_530:                              ;   in Loop: Header=BB2_264 Depth=3
	s_or_b64 exec, exec, s[48:49]
.LBB2_531:                              ;   in Loop: Header=BB2_264 Depth=3
	s_or_b64 exec, exec, s[46:47]
.LBB2_532:                              ;   in Loop: Header=BB2_264 Depth=3
	s_or_b64 exec, exec, s[18:19]
	v_add_f32_e32 v26, v16, v2
	v_and_b32_sdwa v2, v26, s61 dst_sel:DWORD dst_unused:UNUSED_PAD src0_sel:BYTE_3 src1_sel:DWORD
	v_and_b32_e32 v22, 0x7f800000, v26
	v_mov_b32_e32 v23, v43
	v_and_b32_e32 v16, 0x7fffff, v26
	v_mov_b32_e32 v17, v43
	v_or_b32_e32 v19, 0x7e, v2
	v_cmp_ne_u64_e32 vcc, s[36:37], v[22:23]
	s_and_saveexec_b64 s[18:19], vcc
	s_xor_b64 s[46:47], exec, s[18:19]
	s_cbranch_execz .LBB2_542
; %bb.533:                              ;   in Loop: Header=BB2_264 Depth=3
	v_and_b32_e32 v22, 0x7fffffff, v26
	v_mov_b32_e32 v23, v43
	v_cmp_gt_u64_e32 vcc, s[38:39], v[22:23]
	s_and_saveexec_b64 s[48:49], vcc
	s_cbranch_execz .LBB2_541
; %bb.534:                              ;   in Loop: Header=BB2_264 Depth=3
	v_cmp_ne_u32_e32 vcc, 0, v26
	v_mov_b32_e32 v19, 0
	s_and_saveexec_b64 s[50:51], vcc
	s_cbranch_execz .LBB2_540
; %bb.535:                              ;   in Loop: Header=BB2_264 Depth=3
	v_bfe_u32 v19, v26, 23, 8
	v_sub_u32_e32 v23, 0x79, v19
	v_cmp_gt_u32_e32 vcc, s63, v19
	v_cndmask_b32_e32 v23, 0, v23, vcc
	v_cmp_eq_u32_e32 vcc, 0, v19
	v_add_u32_e32 v22, 0xffffff81, v19
	v_cndmask_b32_e32 v27, v23, v6, vcc
	v_cndmask_b32_e32 v19, v22, v30, vcc
	v_add_u32_e32 v22, 20, v27
	v_or_b32_e32 v26, 0x800000, v16
	v_lshlrev_b64 v[22:23], v22, -1
	v_cndmask_b32_e32 v16, v26, v16, vcc
	v_not_b32_e32 v22, v22
	v_and_b32_e32 v36, v16, v22
	v_add_u32_e32 v22, 19, v27
	v_lshrrev_b64 v[16:17], v27, v[16:17]
	v_not_b32_e32 v23, v23
	v_lshlrev_b64 v[50:51], v22, 1
	v_lshrrev_b32_e32 v22, 23, v16
	v_and_b32_e32 v37, 0, v23
	v_add3_u32 v22, v27, v19, v22
	v_bfe_u32 v19, v16, 20, 1
	v_add_u32_e32 v19, -1, v19
	v_cmp_eq_u64_e32 vcc, v[36:37], v[50:51]
	v_cndmask_b32_e32 v19, 0, v19, vcc
	v_add_u32_e32 v19, v19, v16
	v_and_b32_e32 v19, 0xfffff, v19
	v_add_co_u32_e32 v16, vcc, v19, v16
	v_add_u32_e32 v26, 6, v22
	v_addc_co_u32_e32 v17, vcc, 0, v17, vcc
	v_cmp_ne_u32_e32 vcc, 0, v26
                                        ; implicit-def: $vgpr19
	s_and_saveexec_b64 s[18:19], vcc
	s_xor_b64 s[18:19], exec, s[18:19]
; %bb.536:                              ;   in Loop: Header=BB2_264 Depth=3
	v_cmp_lt_u64_e32 vcc, s[40:41], v[16:17]
	v_add_u32_e32 v19, 7, v22
	v_cndmask_b32_e64 v22, 0, 1, vcc
	v_cndmask_b32_e32 v19, v26, v19, vcc
	v_lshrrev_b64 v[16:17], v22, v[16:17]
; %bb.537:                              ;   in Loop: Header=BB2_264 Depth=3
	s_andn2_saveexec_b64 s[18:19], s[18:19]
; %bb.538:                              ;   in Loop: Header=BB2_264 Depth=3
	v_bfe_u32 v19, v16, 23, 1
; %bb.539:                              ;   in Loop: Header=BB2_264 Depth=3
	s_or_b64 exec, exec, s[18:19]
	v_lshrrev_b64 v[16:17], 20, v[16:17]
	v_cmp_gt_i32_e32 vcc, 16, v19
	v_cndmask_b32_e32 v17, 0, v17, vcc
	v_cndmask_b32_e32 v16, 7, v16, vcc
	v_cmp_eq_u64_e64 s[18:19], 0, v[16:17]
	v_min_i32_e32 v17, 15, v19
	v_cmp_eq_u32_e32 vcc, 0, v19
	v_lshlrev_b32_e32 v17, 3, v17
	v_and_or_b32 v16, v16, 7, v17
	s_and_b64 s[18:19], vcc, s[18:19]
	v_cndmask_b32_e64 v16, v16, 0, s[18:19]
	v_or_b32_e32 v19, v16, v2
.LBB2_540:                              ;   in Loop: Header=BB2_264 Depth=3
	s_or_b64 exec, exec, s[50:51]
.LBB2_541:                              ;   in Loop: Header=BB2_264 Depth=3
	s_or_b64 exec, exec, s[48:49]
                                        ; implicit-def: $vgpr26
                                        ; implicit-def: $vgpr16_vgpr17
.LBB2_542:                              ;   in Loop: Header=BB2_264 Depth=3
	s_andn2_saveexec_b64 s[18:19], s[46:47]
; %bb.543:                              ;   in Loop: Header=BB2_264 Depth=3
	v_or_b32_sdwa v2, v26, s62 dst_sel:DWORD dst_unused:UNUSED_PAD src0_sel:BYTE_3 src1_sel:DWORD
	v_cmp_eq_u64_e32 vcc, 0, v[16:17]
	v_cndmask_b32_e32 v19, v2, v19, vcc
; %bb.544:                              ;   in Loop: Header=BB2_264 Depth=3
	s_or_b64 exec, exec, s[18:19]
	v_lshrrev_b16_e32 v2, 8, v18
	v_cmp_ne_u16_e32 vcc, 0, v2
	v_mov_b32_e32 v16, 0
	v_mov_b32_e32 v17, 0
	s_and_saveexec_b64 s[18:19], vcc
	s_cbranch_execz .LBB2_550
; %bb.545:                              ;   in Loop: Header=BB2_264 Depth=3
	v_cmp_ne_u16_e32 vcc, s61, v2
	v_bfrev_b32_e32 v17, 1
	s_and_saveexec_b64 s[46:47], vcc
	s_cbranch_execz .LBB2_549
; %bb.546:                              ;   in Loop: Header=BB2_264 Depth=3
	v_and_b32_e32 v22, 0x7f, v2
	v_cmp_ne_u32_e32 vcc, s62, v22
	v_mov_b32_e32 v17, 0x7f800001
	s_and_saveexec_b64 s[48:49], vcc
	s_cbranch_execz .LBB2_548
; %bb.547:                              ;   in Loop: Header=BB2_264 Depth=3
	v_and_b32_e32 v17, 7, v2
	v_ffbh_u32_e32 v26, v17
	v_min_u32_e32 v33, 32, v26
	v_subrev_u32_e32 v26, 28, v33
	v_lshlrev_b64 v[26:27], v26, v[2:3]
	v_lshrrev_b32_e32 v23, 3, v22
	v_sub_u32_e32 v2, 29, v33
	v_and_b32_e32 v26, 7, v26
	v_cmp_gt_u32_e32 vcc, 8, v22
	v_cndmask_b32_e32 v2, v23, v2, vcc
	v_cndmask_b32_e32 v17, v17, v26, vcc
	v_lshlrev_b32_e32 v22, 16, v18
	v_lshlrev_b32_e32 v17, 20, v17
	v_and_b32_e32 v22, 0x80000000, v22
	v_lshl_add_u32 v2, v2, 23, v47
	v_or3_b32 v17, v22, v2, v17
.LBB2_548:                              ;   in Loop: Header=BB2_264 Depth=3
	s_or_b64 exec, exec, s[48:49]
.LBB2_549:                              ;   in Loop: Header=BB2_264 Depth=3
	s_or_b64 exec, exec, s[46:47]
.LBB2_550:                              ;   in Loop: Header=BB2_264 Depth=3
	s_or_b64 exec, exec, s[18:19]
	v_lshrrev_b16_e32 v2, 8, v31
	v_cmp_ne_u16_e32 vcc, 0, v2
	s_and_saveexec_b64 s[18:19], vcc
	s_cbranch_execz .LBB2_556
; %bb.551:                              ;   in Loop: Header=BB2_264 Depth=3
	v_cmp_ne_u16_e32 vcc, s61, v2
	v_bfrev_b32_e32 v16, 1
	s_and_saveexec_b64 s[46:47], vcc
	s_cbranch_execz .LBB2_555
; %bb.552:                              ;   in Loop: Header=BB2_264 Depth=3
	v_and_b32_e32 v22, 0x7f, v2
	v_cmp_ne_u32_e32 vcc, s62, v22
	v_mov_b32_e32 v16, 0x7f800001
	s_and_saveexec_b64 s[48:49], vcc
	s_cbranch_execz .LBB2_554
; %bb.553:                              ;   in Loop: Header=BB2_264 Depth=3
	v_and_b32_e32 v16, 7, v2
	v_ffbh_u32_e32 v26, v16
	v_min_u32_e32 v33, 32, v26
	v_subrev_u32_e32 v26, 28, v33
	v_lshlrev_b64 v[26:27], v26, v[2:3]
	v_lshrrev_b32_e32 v23, 3, v22
	v_sub_u32_e32 v2, 29, v33
	v_and_b32_e32 v26, 7, v26
	v_cmp_gt_u32_e32 vcc, 8, v22
	v_cndmask_b32_e32 v2, v23, v2, vcc
	v_cndmask_b32_e32 v16, v16, v26, vcc
	v_lshlrev_b32_e32 v22, 16, v31
	v_lshlrev_b32_e32 v16, 20, v16
	v_and_b32_e32 v22, 0x80000000, v22
	v_lshl_add_u32 v2, v2, 23, v47
	v_or3_b32 v16, v22, v2, v16
.LBB2_554:                              ;   in Loop: Header=BB2_264 Depth=3
	s_or_b64 exec, exec, s[48:49]
.LBB2_555:                              ;   in Loop: Header=BB2_264 Depth=3
	s_or_b64 exec, exec, s[46:47]
.LBB2_556:                              ;   in Loop: Header=BB2_264 Depth=3
	s_or_b64 exec, exec, s[18:19]
	v_add_f32_e32 v27, v17, v16
	v_and_b32_sdwa v2, v27, s61 dst_sel:DWORD dst_unused:UNUSED_PAD src0_sel:BYTE_3 src1_sel:DWORD
	v_and_b32_e32 v22, 0x7f800000, v27
	v_mov_b32_e32 v23, v43
	v_and_b32_e32 v16, 0x7fffff, v27
	v_mov_b32_e32 v17, v43
	v_or_b32_e32 v26, 0x7e, v2
	v_cmp_ne_u64_e32 vcc, s[36:37], v[22:23]
	s_and_saveexec_b64 s[18:19], vcc
	s_xor_b64 s[46:47], exec, s[18:19]
	s_cbranch_execz .LBB2_566
; %bb.557:                              ;   in Loop: Header=BB2_264 Depth=3
	v_and_b32_e32 v22, 0x7fffffff, v27
	v_mov_b32_e32 v23, v43
	v_cmp_gt_u64_e32 vcc, s[38:39], v[22:23]
	s_and_saveexec_b64 s[48:49], vcc
	s_cbranch_execz .LBB2_565
; %bb.558:                              ;   in Loop: Header=BB2_264 Depth=3
	v_cmp_ne_u32_e32 vcc, 0, v27
	v_mov_b32_e32 v26, 0
	s_and_saveexec_b64 s[50:51], vcc
	s_cbranch_execz .LBB2_564
; %bb.559:                              ;   in Loop: Header=BB2_264 Depth=3
	v_bfe_u32 v22, v27, 23, 8
	v_sub_u32_e32 v26, 0x79, v22
	v_cmp_gt_u32_e32 vcc, s63, v22
	v_cndmask_b32_e32 v26, 0, v26, vcc
	v_cmp_eq_u32_e32 vcc, 0, v22
	v_cndmask_b32_e32 v26, v26, v6, vcc
	v_add_u32_e32 v23, 0xffffff81, v22
	v_add_u32_e32 v22, 20, v26
	v_or_b32_e32 v27, 0x800000, v16
	v_cndmask_b32_e32 v31, v23, v30, vcc
	v_lshlrev_b64 v[22:23], v22, -1
	v_cndmask_b32_e32 v16, v27, v16, vcc
	v_not_b32_e32 v22, v22
	v_not_b32_e32 v23, v23
	v_and_b32_e32 v36, v16, v22
	v_add_u32_e32 v22, 19, v26
	v_lshrrev_b64 v[16:17], v26, v[16:17]
	v_and_b32_e32 v37, 0, v23
	v_lshlrev_b64 v[50:51], v22, 1
	v_bfe_u32 v23, v16, 20, 1
	v_add_u32_e32 v23, -1, v23
	v_cmp_eq_u64_e32 vcc, v[36:37], v[50:51]
	v_cndmask_b32_e32 v23, 0, v23, vcc
	v_add_u32_e32 v23, v23, v16
	v_lshrrev_b32_e32 v22, 23, v16
	v_and_b32_e32 v23, 0xfffff, v23
	v_add3_u32 v22, v26, v31, v22
	v_add_co_u32_e32 v16, vcc, v23, v16
	v_add_u32_e32 v27, 6, v22
	v_addc_co_u32_e32 v17, vcc, 0, v17, vcc
	v_cmp_ne_u32_e32 vcc, 0, v27
                                        ; implicit-def: $vgpr26
	s_and_saveexec_b64 s[18:19], vcc
	s_xor_b64 s[18:19], exec, s[18:19]
; %bb.560:                              ;   in Loop: Header=BB2_264 Depth=3
	v_add_u32_e32 v22, 7, v22
	v_cmp_lt_u64_e32 vcc, s[40:41], v[16:17]
	v_cndmask_b32_e32 v26, v27, v22, vcc
	v_cndmask_b32_e64 v22, 0, 1, vcc
	v_lshrrev_b64 v[16:17], v22, v[16:17]
; %bb.561:                              ;   in Loop: Header=BB2_264 Depth=3
	s_andn2_saveexec_b64 s[18:19], s[18:19]
; %bb.562:                              ;   in Loop: Header=BB2_264 Depth=3
	v_bfe_u32 v26, v16, 23, 1
; %bb.563:                              ;   in Loop: Header=BB2_264 Depth=3
	s_or_b64 exec, exec, s[18:19]
	v_lshrrev_b64 v[16:17], 20, v[16:17]
	v_cmp_gt_i32_e32 vcc, 16, v26
	v_cndmask_b32_e32 v17, 0, v17, vcc
	v_cndmask_b32_e32 v16, 7, v16, vcc
	v_cmp_eq_u64_e64 s[18:19], 0, v[16:17]
	v_min_i32_e32 v17, 15, v26
	v_cmp_eq_u32_e32 vcc, 0, v26
	v_lshlrev_b32_e32 v17, 3, v17
	v_and_or_b32 v16, v16, 7, v17
	s_and_b64 s[18:19], vcc, s[18:19]
	v_cndmask_b32_e64 v16, v16, 0, s[18:19]
	v_or_b32_e32 v26, v16, v2
.LBB2_564:                              ;   in Loop: Header=BB2_264 Depth=3
	s_or_b64 exec, exec, s[50:51]
.LBB2_565:                              ;   in Loop: Header=BB2_264 Depth=3
	s_or_b64 exec, exec, s[48:49]
                                        ; implicit-def: $vgpr27
                                        ; implicit-def: $vgpr16_vgpr17
.LBB2_566:                              ;   in Loop: Header=BB2_264 Depth=3
	s_andn2_saveexec_b64 s[18:19], s[46:47]
; %bb.567:                              ;   in Loop: Header=BB2_264 Depth=3
	v_or_b32_sdwa v2, v27, s62 dst_sel:DWORD dst_unused:UNUSED_PAD src0_sel:BYTE_3 src1_sel:DWORD
	v_cmp_eq_u64_e32 vcc, 0, v[16:17]
	v_cndmask_b32_e32 v26, v2, v26, vcc
; %bb.568:                              ;   in Loop: Header=BB2_264 Depth=3
	s_or_b64 exec, exec, s[18:19]
	v_lshrrev_b32_e32 v2, 16, v18
	v_cmp_ne_u16_sdwa vcc, v2, v43 src0_sel:BYTE_0 src1_sel:DWORD
	v_mov_b32_e32 v16, 0
	v_mov_b32_e32 v17, 0
	s_and_saveexec_b64 s[18:19], vcc
	s_cbranch_execz .LBB2_574
; %bb.569:                              ;   in Loop: Header=BB2_264 Depth=3
	v_cmp_ne_u16_sdwa vcc, v2, s61 src0_sel:BYTE_0 src1_sel:DWORD
	v_bfrev_b32_e32 v17, 1
	s_and_saveexec_b64 s[46:47], vcc
	s_cbranch_execz .LBB2_573
; %bb.570:                              ;   in Loop: Header=BB2_264 Depth=3
	v_bfe_u32 v22, v18, 16, 7
	v_cmp_ne_u32_e32 vcc, s62, v22
	v_mov_b32_e32 v17, 0x7f800001
	s_and_saveexec_b64 s[48:49], vcc
	s_cbranch_execz .LBB2_572
; %bb.571:                              ;   in Loop: Header=BB2_264 Depth=3
	v_and_b32_e32 v17, 7, v2
	v_ffbh_u32_e32 v27, v17
	v_min_u32_e32 v27, 32, v27
	v_subrev_u32_e32 v31, 28, v27
	v_lshlrev_b64 v[36:37], v31, v[2:3]
	v_lshrrev_b32_e32 v23, 3, v22
	v_sub_u32_e32 v27, 29, v27
	v_and_b32_e32 v31, 7, v36
	v_cmp_gt_u32_e32 vcc, 8, v22
	v_cndmask_b32_e32 v22, v23, v27, vcc
	v_cndmask_b32_e32 v17, v17, v31, vcc
	v_lshlrev_b32_e32 v2, 24, v2
	v_lshlrev_b32_e32 v17, 20, v17
	v_and_b32_e32 v2, 0x80000000, v2
	v_lshl_add_u32 v22, v22, 23, v47
	v_or3_b32 v17, v2, v22, v17
.LBB2_572:                              ;   in Loop: Header=BB2_264 Depth=3
	s_or_b64 exec, exec, s[48:49]
.LBB2_573:                              ;   in Loop: Header=BB2_264 Depth=3
	s_or_b64 exec, exec, s[46:47]
.LBB2_574:                              ;   in Loop: Header=BB2_264 Depth=3
	s_or_b64 exec, exec, s[18:19]
	v_lshrrev_b32_e32 v2, 16, v42
	v_cmp_ne_u16_sdwa vcc, v2, v43 src0_sel:BYTE_0 src1_sel:DWORD
	s_and_saveexec_b64 s[18:19], vcc
	s_cbranch_execz .LBB2_580
; %bb.575:                              ;   in Loop: Header=BB2_264 Depth=3
	v_cmp_ne_u16_sdwa vcc, v2, s61 src0_sel:BYTE_0 src1_sel:DWORD
	v_bfrev_b32_e32 v16, 1
	s_and_saveexec_b64 s[46:47], vcc
	s_cbranch_execz .LBB2_579
; %bb.576:                              ;   in Loop: Header=BB2_264 Depth=3
	v_bfe_u32 v22, v42, 16, 7
	v_cmp_ne_u32_e32 vcc, s62, v22
	v_mov_b32_e32 v16, 0x7f800001
	s_and_saveexec_b64 s[48:49], vcc
	s_cbranch_execz .LBB2_578
; %bb.577:                              ;   in Loop: Header=BB2_264 Depth=3
	v_and_b32_e32 v16, 7, v2
	v_ffbh_u32_e32 v27, v16
	v_min_u32_e32 v27, 32, v27
	v_subrev_u32_e32 v31, 28, v27
	v_lshlrev_b64 v[36:37], v31, v[2:3]
	v_lshrrev_b32_e32 v23, 3, v22
	v_sub_u32_e32 v2, 29, v27
	v_and_b32_e32 v27, 7, v36
	v_cmp_gt_u32_e32 vcc, 8, v22
	v_cndmask_b32_e32 v2, v23, v2, vcc
	v_cndmask_b32_e32 v16, v16, v27, vcc
	v_lshlrev_b32_e32 v22, 8, v42
	v_lshlrev_b32_e32 v16, 20, v16
	v_and_b32_e32 v22, 0x80000000, v22
	v_lshl_add_u32 v2, v2, 23, v47
	v_or3_b32 v16, v22, v2, v16
.LBB2_578:                              ;   in Loop: Header=BB2_264 Depth=3
	s_or_b64 exec, exec, s[48:49]
.LBB2_579:                              ;   in Loop: Header=BB2_264 Depth=3
	s_or_b64 exec, exec, s[46:47]
.LBB2_580:                              ;   in Loop: Header=BB2_264 Depth=3
	s_or_b64 exec, exec, s[18:19]
	v_add_f32_e32 v31, v17, v16
	v_and_b32_sdwa v2, v31, s61 dst_sel:DWORD dst_unused:UNUSED_PAD src0_sel:BYTE_3 src1_sel:DWORD
	v_and_b32_e32 v22, 0x7f800000, v31
	v_mov_b32_e32 v23, v43
	v_and_b32_e32 v16, 0x7fffff, v31
	v_mov_b32_e32 v17, v43
	v_or_b32_e32 v27, 0x7e, v2
	v_cmp_ne_u64_e32 vcc, s[36:37], v[22:23]
	s_and_saveexec_b64 s[18:19], vcc
	s_xor_b64 s[46:47], exec, s[18:19]
	s_cbranch_execz .LBB2_590
; %bb.581:                              ;   in Loop: Header=BB2_264 Depth=3
	v_and_b32_e32 v22, 0x7fffffff, v31
	v_mov_b32_e32 v23, v43
	v_cmp_gt_u64_e32 vcc, s[38:39], v[22:23]
	s_and_saveexec_b64 s[48:49], vcc
	s_cbranch_execz .LBB2_589
; %bb.582:                              ;   in Loop: Header=BB2_264 Depth=3
	v_cmp_ne_u32_e32 vcc, 0, v31
	v_mov_b32_e32 v27, 0
	s_and_saveexec_b64 s[50:51], vcc
	s_cbranch_execz .LBB2_588
; %bb.583:                              ;   in Loop: Header=BB2_264 Depth=3
	v_bfe_u32 v22, v31, 23, 8
	v_sub_u32_e32 v27, 0x79, v22
	v_cmp_gt_u32_e32 vcc, s63, v22
	v_cndmask_b32_e32 v27, 0, v27, vcc
	v_cmp_eq_u32_e32 vcc, 0, v22
	v_cndmask_b32_e32 v27, v27, v6, vcc
	v_add_u32_e32 v23, 0xffffff81, v22
	v_add_u32_e32 v22, 20, v27
	v_or_b32_e32 v31, 0x800000, v16
	v_cndmask_b32_e32 v33, v23, v30, vcc
	v_lshlrev_b64 v[22:23], v22, -1
	v_cndmask_b32_e32 v16, v31, v16, vcc
	v_not_b32_e32 v22, v22
	v_not_b32_e32 v23, v23
	v_and_b32_e32 v36, v16, v22
	v_add_u32_e32 v22, 19, v27
	v_lshrrev_b64 v[16:17], v27, v[16:17]
	v_and_b32_e32 v37, 0, v23
	v_lshlrev_b64 v[50:51], v22, 1
	v_bfe_u32 v23, v16, 20, 1
	v_add_u32_e32 v23, -1, v23
	v_cmp_eq_u64_e32 vcc, v[36:37], v[50:51]
	v_cndmask_b32_e32 v23, 0, v23, vcc
	v_add_u32_e32 v23, v23, v16
	v_lshrrev_b32_e32 v22, 23, v16
	v_and_b32_e32 v23, 0xfffff, v23
	v_add3_u32 v22, v27, v33, v22
	v_add_co_u32_e32 v16, vcc, v23, v16
	v_add_u32_e32 v31, 6, v22
	v_addc_co_u32_e32 v17, vcc, 0, v17, vcc
	v_cmp_ne_u32_e32 vcc, 0, v31
                                        ; implicit-def: $vgpr27
	s_and_saveexec_b64 s[18:19], vcc
	s_xor_b64 s[18:19], exec, s[18:19]
; %bb.584:                              ;   in Loop: Header=BB2_264 Depth=3
	v_add_u32_e32 v22, 7, v22
	v_cmp_lt_u64_e32 vcc, s[40:41], v[16:17]
	v_cndmask_b32_e32 v27, v31, v22, vcc
	v_cndmask_b32_e64 v22, 0, 1, vcc
	v_lshrrev_b64 v[16:17], v22, v[16:17]
; %bb.585:                              ;   in Loop: Header=BB2_264 Depth=3
	s_andn2_saveexec_b64 s[18:19], s[18:19]
; %bb.586:                              ;   in Loop: Header=BB2_264 Depth=3
	v_bfe_u32 v27, v16, 23, 1
; %bb.587:                              ;   in Loop: Header=BB2_264 Depth=3
	s_or_b64 exec, exec, s[18:19]
	v_lshrrev_b64 v[16:17], 20, v[16:17]
	v_cmp_gt_i32_e32 vcc, 16, v27
	v_cndmask_b32_e32 v17, 0, v17, vcc
	v_cndmask_b32_e32 v16, 7, v16, vcc
	v_cmp_eq_u64_e64 s[18:19], 0, v[16:17]
	v_min_i32_e32 v17, 15, v27
	v_lshlrev_b32_e32 v17, 3, v17
	v_cmp_eq_u32_e32 vcc, 0, v27
	v_and_b32_e32 v17, 0xf8, v17
	v_and_or_b32 v16, v16, 7, v17
	s_and_b64 s[18:19], vcc, s[18:19]
	v_cndmask_b32_e64 v16, v16, 0, s[18:19]
	v_or_b32_e32 v27, v16, v2
.LBB2_588:                              ;   in Loop: Header=BB2_264 Depth=3
	s_or_b64 exec, exec, s[50:51]
.LBB2_589:                              ;   in Loop: Header=BB2_264 Depth=3
	s_or_b64 exec, exec, s[48:49]
                                        ; implicit-def: $vgpr31
                                        ; implicit-def: $vgpr16_vgpr17
.LBB2_590:                              ;   in Loop: Header=BB2_264 Depth=3
	s_andn2_saveexec_b64 s[18:19], s[46:47]
; %bb.591:                              ;   in Loop: Header=BB2_264 Depth=3
	v_or_b32_sdwa v2, v31, s62 dst_sel:DWORD dst_unused:UNUSED_PAD src0_sel:BYTE_3 src1_sel:DWORD
	v_cmp_eq_u64_e32 vcc, 0, v[16:17]
	v_cndmask_b32_e32 v27, v2, v27, vcc
; %bb.592:                              ;   in Loop: Header=BB2_264 Depth=3
	s_or_b64 exec, exec, s[18:19]
	v_and_b32_e32 v16, 0xff000000, v18
	v_mov_b32_e32 v17, v43
	v_cmp_ne_u64_e32 vcc, 0, v[16:17]
	v_mov_b32_e32 v16, 0
	v_mov_b32_e32 v17, 0
	s_and_saveexec_b64 s[18:19], vcc
	s_cbranch_execz .LBB2_598
; %bb.593:                              ;   in Loop: Header=BB2_264 Depth=3
	v_lshrrev_b32_e32 v2, 24, v18
	v_cmp_ne_u32_e32 vcc, s61, v2
	v_bfrev_b32_e32 v17, 1
	s_and_saveexec_b64 s[46:47], vcc
	s_cbranch_execz .LBB2_597
; %bb.594:                              ;   in Loop: Header=BB2_264 Depth=3
	v_bfe_u32 v18, v18, 24, 7
	v_cmp_ne_u32_e32 vcc, s62, v18
	v_mov_b32_e32 v17, 0x7f800001
	s_and_saveexec_b64 s[48:49], vcc
	s_cbranch_execz .LBB2_596
; %bb.595:                              ;   in Loop: Header=BB2_264 Depth=3
	v_and_b32_e32 v17, 7, v2
	v_ffbh_u32_e32 v22, v17
	v_min_u32_e32 v33, 32, v22
	v_subrev_u32_e32 v22, 28, v33
	v_lshlrev_b64 v[22:23], v22, v[2:3]
	v_lshrrev_b32_e32 v31, 3, v18
	v_sub_u32_e32 v23, 29, v33
	v_and_b32_e32 v22, 7, v22
	v_cmp_gt_u32_e32 vcc, 8, v18
	v_cndmask_b32_e32 v18, v31, v23, vcc
	v_cndmask_b32_e32 v17, v17, v22, vcc
	v_lshlrev_b32_e32 v2, 24, v2
	v_lshlrev_b32_e32 v17, 20, v17
	v_and_b32_e32 v2, 0x80000000, v2
	v_lshl_add_u32 v18, v18, 23, v47
	v_or3_b32 v17, v2, v18, v17
.LBB2_596:                              ;   in Loop: Header=BB2_264 Depth=3
	s_or_b64 exec, exec, s[48:49]
.LBB2_597:                              ;   in Loop: Header=BB2_264 Depth=3
	s_or_b64 exec, exec, s[46:47]
.LBB2_598:                              ;   in Loop: Header=BB2_264 Depth=3
	s_or_b64 exec, exec, s[18:19]
	v_cmp_lt_u32_e32 vcc, s64, v42
	s_and_saveexec_b64 s[18:19], vcc
	s_cbranch_execz .LBB2_604
; %bb.599:                              ;   in Loop: Header=BB2_264 Depth=3
	v_lshrrev_b32_e32 v2, 24, v42
	v_cmp_ne_u32_sdwa vcc, v42, s61 src0_sel:BYTE_3 src1_sel:DWORD
	v_bfrev_b32_e32 v16, 1
	s_and_saveexec_b64 s[46:47], vcc
	s_cbranch_execz .LBB2_603
; %bb.600:                              ;   in Loop: Header=BB2_264 Depth=3
	v_bfe_u32 v18, v42, 24, 7
	v_cmp_ne_u32_e32 vcc, s62, v18
	v_mov_b32_e32 v16, 0x7f800001
	s_and_saveexec_b64 s[48:49], vcc
	s_cbranch_execz .LBB2_602
; %bb.601:                              ;   in Loop: Header=BB2_264 Depth=3
	v_and_b32_e32 v16, 7, v2
	v_ffbh_u32_e32 v22, v16
	v_min_u32_e32 v33, 32, v22
	v_subrev_u32_e32 v22, 28, v33
	v_lshlrev_b64 v[22:23], v22, v[2:3]
	v_lshrrev_b32_e32 v31, 3, v18
	v_sub_u32_e32 v2, 29, v33
	v_and_b32_e32 v22, 7, v22
	v_cmp_gt_u32_e32 vcc, 8, v18
	v_cndmask_b32_e32 v2, v31, v2, vcc
	v_cndmask_b32_e32 v16, v16, v22, vcc
	v_lshlrev_b32_sdwa v18, v7, v42 dst_sel:DWORD dst_unused:UNUSED_PAD src0_sel:DWORD src1_sel:BYTE_3
	v_lshlrev_b32_e32 v16, 20, v16
	v_and_b32_e32 v18, 0x80000000, v18
	v_lshl_add_u32 v2, v2, 23, v47
	v_or3_b32 v16, v18, v2, v16
.LBB2_602:                              ;   in Loop: Header=BB2_264 Depth=3
	s_or_b64 exec, exec, s[48:49]
.LBB2_603:                              ;   in Loop: Header=BB2_264 Depth=3
	s_or_b64 exec, exec, s[46:47]
.LBB2_604:                              ;   in Loop: Header=BB2_264 Depth=3
	s_or_b64 exec, exec, s[18:19]
	v_add_f32_e32 v17, v17, v16
	v_and_b32_sdwa v2, v17, s61 dst_sel:DWORD dst_unused:UNUSED_PAD src0_sel:BYTE_3 src1_sel:DWORD
	v_and_b32_e32 v22, 0x7f800000, v17
	v_mov_b32_e32 v23, v43
	v_and_b32_e32 v42, 0x7fffff, v17
	v_or_b32_e32 v16, 0x7e, v2
	v_cmp_ne_u64_e32 vcc, s[36:37], v[22:23]
	s_and_saveexec_b64 s[18:19], vcc
	s_xor_b64 s[46:47], exec, s[18:19]
	s_cbranch_execz .LBB2_614
; %bb.605:                              ;   in Loop: Header=BB2_264 Depth=3
	v_and_b32_e32 v22, 0x7fffffff, v17
	v_mov_b32_e32 v23, v43
	v_cmp_gt_u64_e32 vcc, s[38:39], v[22:23]
	s_and_saveexec_b64 s[48:49], vcc
	s_cbranch_execz .LBB2_613
; %bb.606:                              ;   in Loop: Header=BB2_264 Depth=3
	v_cmp_ne_u32_e32 vcc, 0, v17
	v_mov_b32_e32 v16, 0
	s_and_saveexec_b64 s[50:51], vcc
	s_cbranch_execz .LBB2_612
; %bb.607:                              ;   in Loop: Header=BB2_264 Depth=3
	v_bfe_u32 v16, v17, 23, 8
	v_sub_u32_e32 v18, 0x79, v16
	v_cmp_gt_u32_e32 vcc, s63, v16
	v_cndmask_b32_e32 v18, 0, v18, vcc
	v_cmp_eq_u32_e32 vcc, 0, v16
	v_or_b32_e32 v22, 0x800000, v42
	v_cndmask_b32_e32 v18, v18, v6, vcc
	v_add_u32_e32 v17, 0xffffff81, v16
	v_cndmask_b32_e32 v42, v22, v42, vcc
	v_add_u32_e32 v16, 20, v18
	v_cndmask_b32_e32 v23, v17, v30, vcc
	v_lshlrev_b64 v[16:17], v16, -1
	v_add_u32_e32 v22, 19, v18
	v_lshrrev_b64 v[50:51], v18, v[42:43]
	v_not_b32_e32 v17, v17
	v_not_b32_e32 v16, v16
	v_lshlrev_b64 v[36:37], v22, 1
	v_lshrrev_b32_e32 v22, 23, v50
	v_and_b32_e32 v17, 0, v17
	v_and_b32_e32 v16, v42, v16
	v_add3_u32 v22, v18, v23, v22
	v_bfe_u32 v18, v50, 20, 1
	v_add_u32_e32 v18, -1, v18
	v_cmp_eq_u64_e32 vcc, v[16:17], v[36:37]
	v_cndmask_b32_e32 v16, 0, v18, vcc
	v_add_u32_e32 v16, v16, v50
	v_and_b32_e32 v16, 0xfffff, v16
	v_add_co_u32_e32 v16, vcc, v16, v50
	v_add_u32_e32 v31, 6, v22
	v_addc_co_u32_e32 v17, vcc, 0, v51, vcc
	v_cmp_ne_u32_e32 vcc, 0, v31
                                        ; implicit-def: $vgpr18
	s_and_saveexec_b64 s[18:19], vcc
	s_xor_b64 s[18:19], exec, s[18:19]
; %bb.608:                              ;   in Loop: Header=BB2_264 Depth=3
	v_cmp_lt_u64_e32 vcc, s[40:41], v[16:17]
	v_add_u32_e32 v18, 7, v22
	v_cndmask_b32_e64 v22, 0, 1, vcc
	v_cndmask_b32_e32 v18, v31, v18, vcc
	v_lshrrev_b64 v[16:17], v22, v[16:17]
; %bb.609:                              ;   in Loop: Header=BB2_264 Depth=3
	s_andn2_saveexec_b64 s[18:19], s[18:19]
; %bb.610:                              ;   in Loop: Header=BB2_264 Depth=3
	v_bfe_u32 v18, v16, 23, 1
; %bb.611:                              ;   in Loop: Header=BB2_264 Depth=3
	s_or_b64 exec, exec, s[18:19]
	v_lshrrev_b64 v[16:17], 20, v[16:17]
	v_cmp_gt_i32_e32 vcc, 16, v18
	v_cndmask_b32_e32 v17, 0, v17, vcc
	v_cndmask_b32_e32 v16, 7, v16, vcc
	v_cmp_eq_u64_e64 s[18:19], 0, v[16:17]
	v_min_i32_e32 v17, 15, v18
	v_lshlrev_b32_e32 v17, 3, v17
	v_cmp_eq_u32_e32 vcc, 0, v18
	v_and_b32_e32 v17, 0xf8, v17
	v_and_or_b32 v16, v16, 7, v17
	s_and_b64 s[18:19], vcc, s[18:19]
	v_cndmask_b32_e64 v16, v16, 0, s[18:19]
	v_or_b32_e32 v16, v16, v2
.LBB2_612:                              ;   in Loop: Header=BB2_264 Depth=3
	s_or_b64 exec, exec, s[50:51]
.LBB2_613:                              ;   in Loop: Header=BB2_264 Depth=3
	s_or_b64 exec, exec, s[48:49]
                                        ; implicit-def: $vgpr17
.LBB2_614:                              ;   in Loop: Header=BB2_264 Depth=3
	s_andn2_saveexec_b64 s[18:19], s[46:47]
	s_cbranch_execz .LBB2_263
; %bb.615:                              ;   in Loop: Header=BB2_264 Depth=3
	v_or_b32_sdwa v2, v17, s62 dst_sel:DWORD dst_unused:UNUSED_PAD src0_sel:BYTE_3 src1_sel:DWORD
	v_cmp_eq_u64_e32 vcc, 0, v[42:43]
	v_cndmask_b32_e32 v16, v2, v16, vcc
	s_branch .LBB2_263
.LBB2_616:                              ;   in Loop: Header=BB2_220 Depth=2
	s_or_b64 exec, exec, s[44:45]
	v_accvgpr_read_b32 v8, a44
	v_accvgpr_read_b32 v9, a45
	s_or_b64 exec, exec, s[42:43]
	s_and_saveexec_b64 s[18:19], s[10:11]
	s_cbranch_execz .LBB2_224
.LBB2_617:                              ;   in Loop: Header=BB2_220 Depth=2
	s_and_saveexec_b64 vcc, s[28:29]
	s_xor_b64 s[42:43], exec, vcc
	s_cbranch_execz .LBB2_632
; %bb.618:                              ;   in Loop: Header=BB2_220 Depth=2
	s_and_saveexec_b64 s[44:45], s[12:13]
	s_cbranch_execz .LBB2_631
; %bb.619:                              ;   in Loop: Header=BB2_220 Depth=2
	s_mov_b64 s[48:49], exec
	v_mbcnt_lo_u32_b32 v1, s48, 0
	v_mbcnt_hi_u32_b32 v1, s49, v1
	v_cmp_eq_u32_e32 vcc, 0, v1
	s_waitcnt vmcnt(0) lgkmcnt(0)
	buffer_wbinvl1_vol
	s_and_saveexec_b64 s[46:47], vcc
	s_cbranch_execz .LBB2_621
; %bb.620:                              ;   in Loop: Header=BB2_220 Depth=2
	s_bcnt1_i32_b64 vcc_lo, s[48:49]
	v_mov_b32_e32 v42, vcc_lo
	ds_add_u64 v0, v[42:43]
	s_trap 2
.LBB2_621:                              ;   in Loop: Header=BB2_220 Depth=2
	s_or_b64 exec, exec, s[46:47]
	s_trap 2
	ds_read_b64 v[2:3], v0
	v_accvgpr_read_b32 v4, a32
	v_add_co_u32_e32 v54, vcc, v54, v4
	v_accvgpr_read_b32 v1, a29
	v_addc_co_u32_e32 v55, vcc, v55, v1, vcc
	s_waitcnt lgkmcnt(0)
	v_cmp_lt_u64_e32 vcc, v[2:3], v[54:55]
	s_and_saveexec_b64 s[46:47], vcc
	s_cbranch_execz .LBB2_630
; %bb.622:                              ;   in Loop: Header=BB2_220 Depth=2
	s_mov_b32 s71, 0
	s_mov_b64 s[48:49], 0
                                        ; implicit-def: $sgpr50_sgpr51
                                        ; implicit-def: $sgpr52_sgpr53
	s_branch .LBB2_624
.LBB2_623:                              ;   in Loop: Header=BB2_624 Depth=3
	s_or_b64 exec, exec, s[56:57]
	s_and_b64 vcc, exec, vcc
	s_or_b64 s[48:49], vcc, s[48:49]
	s_andn2_b64 vcc, s[50:51], exec
	s_and_b64 s[50:51], s[52:53], exec
	s_or_b64 s[50:51], vcc, s[50:51]
	s_andn2_b64 exec, exec, s[48:49]
	s_cbranch_execz .LBB2_628
.LBB2_624:                              ;   Parent Loop BB2_27 Depth=1
                                        ;     Parent Loop BB2_220 Depth=2
                                        ; =>    This Inner Loop Header: Depth=3
	s_add_i32 s71, s71, 1
	s_cmpk_lg_i32 s71, 0x2710
	s_cselect_b64 s[54:55], -1, 0
	s_and_b64 vcc, exec, s[54:55]
                                        ; implicit-def: $sgpr56_sgpr57
	s_cbranch_vccnz .LBB2_626
; %bb.625:                              ;   in Loop: Header=BB2_624 Depth=3
	s_trap 2
	ds_read_b64 v[2:3], v0
	s_andn2_b64 s[54:55], s[54:55], exec
	s_mov_b32 s71, 0
	s_mov_b64 s[56:57], -1
	s_waitcnt lgkmcnt(0)
	flat_load_dword v1, v[2:3] glc
	s_waitcnt vmcnt(0) lgkmcnt(0)
	buffer_invl2
	buffer_wbinvl1_vol
	v_cmp_eq_u32_e32 vcc, 0, v1
	s_and_b64 vcc, vcc, exec
	s_or_b64 s[54:55], s[54:55], vcc
.LBB2_626:                              ;   in Loop: Header=BB2_624 Depth=3
	s_andn2_b64 s[52:53], s[52:53], exec
	s_and_b64 s[56:57], s[56:57], exec
	s_mov_b64 vcc, -1
	s_or_b64 s[52:53], s[52:53], s[56:57]
	s_and_saveexec_b64 s[56:57], s[54:55]
	s_cbranch_execz .LBB2_623
; %bb.627:                              ;   in Loop: Header=BB2_624 Depth=3
	s_sleep 1
	s_trap 2
	ds_read_b64 v[2:3], v0
	s_andn2_b64 s[52:53], s[52:53], exec
	s_waitcnt lgkmcnt(0)
	v_cmp_ge_u64_e32 vcc, v[2:3], v[54:55]
	s_orn2_b64 vcc, vcc, exec
	s_branch .LBB2_623
.LBB2_628:                              ;   in Loop: Header=BB2_220 Depth=2
	s_or_b64 exec, exec, s[48:49]
	s_and_saveexec_b64 vcc, s[50:51]
	s_xor_b64 vcc, exec, vcc
	s_cbranch_execz .LBB2_630
; %bb.629:                              ;   in Loop: Header=BB2_220 Depth=2
	v_mov_b32_e32 v1, 1
	ds_write_b32 v0, v1
	s_trap 2
.LBB2_630:                              ;   in Loop: Header=BB2_220 Depth=2
	s_or_b64 exec, exec, s[46:47]
	;;#ASMSTART
	s_wakeup
	;;#ASMEND
.LBB2_631:                              ;   in Loop: Header=BB2_220 Depth=2
	s_or_b64 exec, exec, s[44:45]
.LBB2_632:                              ;   in Loop: Header=BB2_220 Depth=2
	s_andn2_saveexec_b64 vcc, s[42:43]
	s_cbranch_execz .LBB2_634
; %bb.633:                              ;   in Loop: Header=BB2_220 Depth=2
	s_waitcnt vmcnt(0) lgkmcnt(0)
	buffer_wbinvl1_vol
	s_barrier
.LBB2_634:                              ;   in Loop: Header=BB2_220 Depth=2
	s_or_b64 exec, exec, vcc
	s_or_b64 exec, exec, s[18:19]
	s_and_saveexec_b64 s[18:19], s[14:15]
	s_cbranch_execnz .LBB2_225
	s_branch .LBB2_226
.LBB2_635:                              ;   in Loop: Header=BB2_27 Depth=1
	s_waitcnt vmcnt(0) lgkmcnt(0)
	v_accvgpr_read_b32 v2, a10
	v_accvgpr_read_b32 v3, a11
	v_pk_mov_b32 v[16:17], v[28:29], v[28:29] op_sel:[0,1]
	s_and_saveexec_b64 s[18:19], s[16:17]
	s_cbranch_execnz .LBB2_637
	s_branch .LBB2_1010
.LBB2_636:                              ;   in Loop: Header=BB2_27 Depth=1
	s_waitcnt vmcnt(0) lgkmcnt(0)
	v_accvgpr_read_b32 v2, a10
	v_accvgpr_read_b32 v3, a11
	v_pk_mov_b32 v[16:17], v[28:29], v[28:29] op_sel:[0,1]
	v_accvgpr_read_b32 v38, a39
	v_accvgpr_read_b32 v4, a47
	;; [unrolled: 1-line block ×3, first 2 shown]
	s_and_saveexec_b64 s[18:19], s[16:17]
	s_cbranch_execz .LBB2_1010
.LBB2_637:                              ;   in Loop: Header=BB2_27 Depth=1
	v_accvgpr_read_b32 v0, a6
	v_accvgpr_read_b32 v1, a7
	flat_load_dword v8, v[0:1]
	v_accvgpr_read_b32 v2, a12
	v_accvgpr_read_b32 v3, a13
	v_add_co_u32_e32 v2, vcc, v2, v4
	v_addc_co_u32_e32 v3, vcc, v3, v5, vcc
	v_accvgpr_read_b32 v0, a37
	v_add_co_u32_e32 v0, vcc, v0, v4
	v_and_b32_e32 v4, 7, v34
	v_accvgpr_read_b32 v1, a38
	v_mul_lo_u32 v4, v4, s58
	v_addc_co_u32_e32 v1, vcc, v1, v5, vcc
	v_ashrrev_i32_e32 v5, 31, v4
	v_lshlrev_b64 v[4:5], 4, v[4:5]
	v_accvgpr_read_b32 v10, a18
	v_accvgpr_read_b32 v11, a19
	v_add_co_u32_e32 v29, vcc, v10, v4
	v_addc_co_u32_e32 v41, vcc, v11, v5, vcc
	v_accvgpr_read_b32 v5, a28
	v_accvgpr_read_b32 v9, a3
	v_add_u32_e32 v28, 1, v34
	s_mov_b64 s[42:43], 0
	v_accvgpr_read_b32 v26, a2
	s_waitcnt vmcnt(0) lgkmcnt(0)
	v_ashrrev_i32_e32 v4, 31, v8
	v_mul_lo_u32 v5, v5, v8
	v_mad_u64_u32 v[2:3], s[16:17], v9, v8, v[2:3]
	v_mul_lo_u32 v4, v9, v4
	v_add3_u32 v3, v5, v3, v4
	v_accvgpr_read_b32 v4, a34
	v_add_co_u32_e32 v18, vcc, v2, v4
	v_accvgpr_read_b32 v5, a33
	v_addc_co_u32_e32 v19, vcc, v3, v5, vcc
	s_branch .LBB2_639
.LBB2_638:                              ;   in Loop: Header=BB2_639 Depth=2
	v_add_co_u32_e32 v18, vcc, v18, v56
	v_addc_co_u32_e32 v19, vcc, v19, v45, vcc
	v_add_co_u32_e32 v0, vcc, v0, v56
	v_addc_co_u32_e32 v1, vcc, v1, v45, vcc
	v_sub_u32_e32 v32, v32, v56
	v_cmp_gt_i32_e32 vcc, 1, v32
	s_or_b64 s[42:43], vcc, s[42:43]
	v_add_u32_e32 v26, v26, v20
	s_andn2_b64 exec, exec, s[42:43]
	s_cbranch_execz .LBB2_1009
.LBB2_639:                              ;   Parent Loop BB2_27 Depth=1
                                        ; =>  This Loop Header: Depth=2
                                        ;       Child Loop BB2_647 Depth 3
	v_and_b32_e32 v2, -4, v18
	v_mov_b32_e32 v3, v19
	global_load_dword v8, v[2:3], off glc slc
	v_min_u32_e32 v4, 8, v32
	v_and_b32_e32 v5, 3, v18
	v_add_co_u32_e32 v4, vcc, v5, v4
	v_addc_co_u32_e64 v5, s[16:17], 0, 0, vcc
	v_mov_b32_e32 v9, 0
	v_cmp_lt_u64_e32 vcc, 4, v[4:5]
	v_mov_b32_e32 v33, 0
	s_and_saveexec_b64 s[16:17], vcc
	s_cbranch_execz .LBB2_641
; %bb.640:                              ;   in Loop: Header=BB2_639 Depth=2
	global_load_dword v33, v[2:3], off offset:4 glc slc
.LBB2_641:                              ;   in Loop: Header=BB2_639 Depth=2
	s_or_b64 exec, exec, s[16:17]
	v_cmp_lt_u64_e32 vcc, 8, v[4:5]
	s_and_saveexec_b64 s[16:17], vcc
	s_cbranch_execz .LBB2_643
; %bb.642:                              ;   in Loop: Header=BB2_639 Depth=2
	global_load_dword v9, v[2:3], off offset:8 glc slc
.LBB2_643:                              ;   in Loop: Header=BB2_639 Depth=2
	s_or_b64 exec, exec, s[16:17]
	v_ashrrev_i32_e32 v27, 31, v26
	v_lshlrev_b64 v[2:3], 4, v[26:27]
	v_add_co_u32_e32 v10, vcc, v29, v2
	v_addc_co_u32_e32 v11, vcc, v41, v3, vcc
	global_load_dwordx4 v[2:5], v[10:11], off glc slc
	v_cmp_eq_u32_e32 vcc, 0, v40
	s_and_saveexec_b64 s[44:45], vcc
	s_cbranch_execz .LBB2_655
; %bb.644:                              ;   in Loop: Header=BB2_639 Depth=2
	s_waitcnt vmcnt(0)
	v_cmp_ne_u32_e32 vcc, v28, v3
	v_cmp_ne_u32_e64 s[16:17], v28, v5
	s_or_b64 s[16:17], vcc, s[16:17]
	v_mov_b32_e32 v40, 0
	s_and_saveexec_b64 s[46:47], s[16:17]
	s_cbranch_execz .LBB2_654
; %bb.645:                              ;   in Loop: Header=BB2_639 Depth=2
	s_mov_b32 s52, 1
	s_mov_b64 s[48:49], 0
	v_mov_b32_e32 v40, 0
	s_branch .LBB2_647
.LBB2_646:                              ;   in Loop: Header=BB2_647 Depth=3
	s_or_b64 exec, exec, s[50:51]
	s_and_b64 s[16:17], exec, s[16:17]
	s_or_b64 s[48:49], s[16:17], s[48:49]
	s_andn2_b64 exec, exec, s[48:49]
	s_cbranch_execz .LBB2_653
.LBB2_647:                              ;   Parent Loop BB2_27 Depth=1
                                        ;     Parent Loop BB2_639 Depth=2
                                        ; =>    This Inner Loop Header: Depth=3
	global_load_dwordx4 v[2:5], v[10:11], off glc slc
	s_add_i32 s52, s52, 1
	s_cmpk_lg_i32 s52, 0x2710
	s_cbranch_scc1 .LBB2_651
; %bb.648:                              ;   in Loop: Header=BB2_647 Depth=3
	s_trap 2
	ds_read_b64 v[22:23], v0
	s_waitcnt vmcnt(0) lgkmcnt(0)
	flat_load_dword v21, v[22:23] glc
	s_waitcnt vmcnt(0) lgkmcnt(0)
	buffer_invl2
	buffer_wbinvl1_vol
	v_cmp_ne_u32_e32 vcc, 0, v21
	s_and_saveexec_b64 s[16:17], vcc
	s_cbranch_execz .LBB2_650
; %bb.649:                              ;   in Loop: Header=BB2_647 Depth=3
	v_mov_b32_e32 v40, 1
	ds_write_b32 v0, v21
	s_trap 2
.LBB2_650:                              ;   in Loop: Header=BB2_647 Depth=3
	s_or_b64 exec, exec, s[16:17]
	s_mov_b32 s52, 0
	v_mov_b32_e32 v21, v40
	v_cmp_eq_u32_e32 vcc, 0, v21
	s_mov_b64 s[16:17], -1
	s_and_saveexec_b64 s[50:51], vcc
	s_cbranch_execz .LBB2_646
	s_branch .LBB2_652
.LBB2_651:                              ;   in Loop: Header=BB2_647 Depth=3
	v_mov_b32_e32 v21, 0
	v_cmp_eq_u32_e32 vcc, 0, v21
	s_mov_b64 s[16:17], -1
	s_and_saveexec_b64 s[50:51], vcc
	s_cbranch_execz .LBB2_646
.LBB2_652:                              ;   in Loop: Header=BB2_647 Depth=3
	s_waitcnt vmcnt(0)
	v_cmp_eq_u32_e32 vcc, v28, v3
	v_cmp_eq_u32_e64 s[16:17], v28, v5
	s_and_b64 s[16:17], vcc, s[16:17]
	s_orn2_b64 s[16:17], s[16:17], exec
	s_branch .LBB2_646
.LBB2_653:                              ;   in Loop: Header=BB2_639 Depth=2
	s_or_b64 exec, exec, s[48:49]
.LBB2_654:                              ;   in Loop: Header=BB2_639 Depth=2
	s_or_b64 exec, exec, s[46:47]
.LBB2_655:                              ;   in Loop: Header=BB2_639 Depth=2
	s_or_b64 exec, exec, s[44:45]
	v_lshlrev_b32_e32 v27, 3, v18
	s_waitcnt vmcnt(0)
	v_alignbit_b32 v42, v33, v8, v27
	v_cmp_ne_u16_sdwa vcc, v42, v43 src0_sel:BYTE_0 src1_sel:DWORD
	v_mov_b32_e32 v8, 0
	s_and_saveexec_b64 s[16:17], vcc
	s_cbranch_execz .LBB2_661
; %bb.656:                              ;   in Loop: Header=BB2_639 Depth=2
	v_cmp_ne_u16_sdwa vcc, v42, s61 src0_sel:BYTE_0 src1_sel:DWORD
	v_bfrev_b32_e32 v8, 1
	s_and_saveexec_b64 s[44:45], vcc
	s_cbranch_execz .LBB2_660
; %bb.657:                              ;   in Loop: Header=BB2_639 Depth=2
	v_and_b32_e32 v10, 0x7f, v42
	v_cmp_ne_u32_e32 vcc, s62, v10
	v_mov_b32_e32 v8, 0x7f800001
	s_and_saveexec_b64 s[46:47], vcc
	s_cbranch_execz .LBB2_659
; %bb.658:                              ;   in Loop: Header=BB2_639 Depth=2
	v_and_b32_e32 v8, 7, v42
	v_ffbh_u32_e32 v8, v8
	v_min_u32_e32 v8, 32, v8
	v_subrev_u32_e32 v21, 28, v8
	v_cmp_gt_u32_e32 vcc, 8, v10
	v_lshrrev_b32_e32 v11, 3, v10
	v_sub_u32_e32 v8, 29, v8
	v_cndmask_b32_e32 v10, 0, v21, vcc
	v_cndmask_b32_e32 v8, v11, v8, vcc
	v_lshlrev_b64 v[10:11], v10, v[42:43]
	v_lshlrev_b32_e32 v10, 20, v10
	v_lshlrev_b32_e32 v11, 24, v42
	v_and_b32_e32 v10, 0x700000, v10
	v_and_b32_e32 v11, 0x80000000, v11
	v_lshl_add_u32 v8, v8, 23, v47
	v_or3_b32 v8, v11, v8, v10
.LBB2_659:                              ;   in Loop: Header=BB2_639 Depth=2
	s_or_b64 exec, exec, s[46:47]
.LBB2_660:                              ;   in Loop: Header=BB2_639 Depth=2
	s_or_b64 exec, exec, s[44:45]
.LBB2_661:                              ;   in Loop: Header=BB2_639 Depth=2
	s_or_b64 exec, exec, s[16:17]
	v_mul_f32_e32 v24, v62, v8
	v_and_b32_sdwa v21, v24, s61 dst_sel:DWORD dst_unused:UNUSED_PAD src0_sel:BYTE_3 src1_sel:DWORD
	v_and_b32_e32 v22, 0x7f800000, v24
	v_mov_b32_e32 v23, v43
	v_and_b32_e32 v10, 0x7fffff, v24
	v_mov_b32_e32 v11, v43
	v_or_b32_e32 v8, 0x7e, v21
	v_cmp_ne_u64_e32 vcc, s[36:37], v[22:23]
	s_and_saveexec_b64 s[16:17], vcc
	s_xor_b64 s[44:45], exec, s[16:17]
	s_cbranch_execz .LBB2_671
; %bb.662:                              ;   in Loop: Header=BB2_639 Depth=2
	v_and_b32_e32 v22, 0x7fffffff, v24
	v_mov_b32_e32 v23, v43
	v_cmp_gt_u64_e32 vcc, s[38:39], v[22:23]
	s_and_saveexec_b64 s[46:47], vcc
	s_cbranch_execz .LBB2_670
; %bb.663:                              ;   in Loop: Header=BB2_639 Depth=2
	v_cmp_ne_u32_e32 vcc, 0, v24
	v_mov_b32_e32 v8, 0
	s_and_saveexec_b64 s[48:49], vcc
	s_cbranch_execz .LBB2_669
; %bb.664:                              ;   in Loop: Header=BB2_639 Depth=2
	v_bfe_u32 v8, v24, 23, 8
	v_sub_u32_e32 v23, 0x79, v8
	v_cmp_gt_u32_e32 vcc, s63, v8
	v_cndmask_b32_e32 v23, 0, v23, vcc
	v_cmp_eq_u32_e32 vcc, 0, v8
	v_add_u32_e32 v22, 0xffffff81, v8
	v_cndmask_b32_e32 v25, v23, v6, vcc
	v_cndmask_b32_e32 v8, v22, v30, vcc
	v_add_u32_e32 v22, 20, v25
	v_or_b32_e32 v24, 0x800000, v10
	v_lshlrev_b64 v[22:23], v22, -1
	v_cndmask_b32_e32 v10, v24, v10, vcc
	v_not_b32_e32 v22, v22
	v_and_b32_e32 v22, v10, v22
	v_add_u32_e32 v24, 19, v25
	v_lshrrev_b64 v[10:11], v25, v[10:11]
	v_not_b32_e32 v23, v23
	v_lshlrev_b64 v[48:49], v24, 1
	v_lshrrev_b32_e32 v24, 23, v10
	v_and_b32_e32 v23, 0, v23
	v_add3_u32 v25, v25, v8, v24
	v_bfe_u32 v8, v10, 20, 1
	v_add_u32_e32 v8, -1, v8
	v_cmp_eq_u64_e32 vcc, v[22:23], v[48:49]
	v_cndmask_b32_e32 v8, 0, v8, vcc
	v_add_u32_e32 v8, v8, v10
	v_and_b32_e32 v8, 0xfffff, v8
	v_add_co_u32_e32 v10, vcc, v8, v10
	v_add_u32_e32 v24, 6, v25
	v_addc_co_u32_e32 v11, vcc, 0, v11, vcc
	v_cmp_ne_u32_e32 vcc, 0, v24
                                        ; implicit-def: $vgpr8
	s_and_saveexec_b64 s[16:17], vcc
	s_xor_b64 s[16:17], exec, s[16:17]
; %bb.665:                              ;   in Loop: Header=BB2_639 Depth=2
	v_cmp_lt_u64_e32 vcc, s[40:41], v[10:11]
	v_add_u32_e32 v8, 7, v25
	v_cndmask_b32_e64 v22, 0, 1, vcc
	v_cndmask_b32_e32 v8, v24, v8, vcc
	v_lshrrev_b64 v[10:11], v22, v[10:11]
; %bb.666:                              ;   in Loop: Header=BB2_639 Depth=2
	s_andn2_saveexec_b64 s[16:17], s[16:17]
; %bb.667:                              ;   in Loop: Header=BB2_639 Depth=2
	v_bfe_u32 v8, v10, 23, 1
; %bb.668:                              ;   in Loop: Header=BB2_639 Depth=2
	s_or_b64 exec, exec, s[16:17]
	v_lshrrev_b64 v[10:11], 20, v[10:11]
	v_cmp_gt_i32_e32 vcc, 16, v8
	v_cndmask_b32_e32 v11, 0, v11, vcc
	v_cndmask_b32_e32 v10, 7, v10, vcc
	v_cmp_eq_u32_e32 vcc, 0, v8
	v_min_i32_e32 v8, 15, v8
	v_cmp_eq_u64_e64 s[16:17], 0, v[10:11]
	v_lshlrev_b32_e32 v8, 3, v8
	v_and_or_b32 v8, v10, 7, v8
	s_and_b64 s[16:17], vcc, s[16:17]
	v_cndmask_b32_e64 v8, v8, 0, s[16:17]
	v_or_b32_e32 v8, v8, v21
.LBB2_669:                              ;   in Loop: Header=BB2_639 Depth=2
	s_or_b64 exec, exec, s[48:49]
.LBB2_670:                              ;   in Loop: Header=BB2_639 Depth=2
	s_or_b64 exec, exec, s[46:47]
                                        ; implicit-def: $vgpr24
                                        ; implicit-def: $vgpr10_vgpr11
.LBB2_671:                              ;   in Loop: Header=BB2_639 Depth=2
	s_andn2_saveexec_b64 s[16:17], s[44:45]
; %bb.672:                              ;   in Loop: Header=BB2_639 Depth=2
	v_or_b32_sdwa v21, v24, s62 dst_sel:DWORD dst_unused:UNUSED_PAD src0_sel:BYTE_3 src1_sel:DWORD
	v_cmp_eq_u64_e32 vcc, 0, v[10:11]
	v_cndmask_b32_e32 v8, v21, v8, vcc
; %bb.673:                              ;   in Loop: Header=BB2_639 Depth=2
	s_or_b64 exec, exec, s[16:17]
	v_lshrrev_b16_e32 v10, 8, v42
	v_cmp_ne_u16_e32 vcc, 0, v10
	v_mov_b32_e32 v11, 0
	s_and_saveexec_b64 s[16:17], vcc
	s_cbranch_execz .LBB2_679
; %bb.674:                              ;   in Loop: Header=BB2_639 Depth=2
	v_cmp_ne_u16_e32 vcc, s61, v10
	v_bfrev_b32_e32 v11, 1
	s_and_saveexec_b64 s[44:45], vcc
	s_cbranch_execz .LBB2_678
; %bb.675:                              ;   in Loop: Header=BB2_639 Depth=2
	v_and_b32_e32 v21, 0x7f, v10
	v_cmp_ne_u32_e32 vcc, s62, v21
	v_mov_b32_e32 v11, 0x7f800001
	s_and_saveexec_b64 s[46:47], vcc
	s_cbranch_execz .LBB2_677
; %bb.676:                              ;   in Loop: Header=BB2_639 Depth=2
	v_and_b32_e32 v22, 7, v10
	v_ffbh_u32_e32 v11, v22
	v_min_u32_e32 v24, 32, v11
	v_subrev_u32_e32 v11, 28, v24
	v_lshlrev_b64 v[10:11], v11, v[10:11]
	v_lshrrev_b32_e32 v23, 3, v21
	v_sub_u32_e32 v11, 29, v24
	v_and_b32_e32 v10, 7, v10
	v_cmp_gt_u32_e32 vcc, 8, v21
	v_cndmask_b32_e32 v11, v23, v11, vcc
	v_cndmask_b32_e32 v10, v22, v10, vcc
	v_lshlrev_b32_e32 v21, 16, v42
	v_lshlrev_b32_e32 v10, 20, v10
	v_and_b32_e32 v21, 0x80000000, v21
	v_lshl_add_u32 v11, v11, 23, v47
	v_or3_b32 v11, v21, v11, v10
.LBB2_677:                              ;   in Loop: Header=BB2_639 Depth=2
	s_or_b64 exec, exec, s[46:47]
.LBB2_678:                              ;   in Loop: Header=BB2_639 Depth=2
	s_or_b64 exec, exec, s[44:45]
.LBB2_679:                              ;   in Loop: Header=BB2_639 Depth=2
	s_or_b64 exec, exec, s[16:17]
	v_mul_f32_e32 v24, v62, v11
	v_and_b32_sdwa v21, v24, s61 dst_sel:DWORD dst_unused:UNUSED_PAD src0_sel:BYTE_3 src1_sel:DWORD
	v_and_b32_e32 v22, 0x7f800000, v24
	v_mov_b32_e32 v23, v43
	v_and_b32_e32 v10, 0x7fffff, v24
	v_mov_b32_e32 v11, v43
	v_or_b32_e32 v31, 0x7e, v21
	v_cmp_ne_u64_e32 vcc, s[36:37], v[22:23]
	s_and_saveexec_b64 s[16:17], vcc
	s_xor_b64 s[44:45], exec, s[16:17]
	s_cbranch_execz .LBB2_689
; %bb.680:                              ;   in Loop: Header=BB2_639 Depth=2
	v_and_b32_e32 v22, 0x7fffffff, v24
	v_mov_b32_e32 v23, v43
	v_cmp_gt_u64_e32 vcc, s[38:39], v[22:23]
	s_and_saveexec_b64 s[46:47], vcc
	s_cbranch_execz .LBB2_688
; %bb.681:                              ;   in Loop: Header=BB2_639 Depth=2
	v_cmp_ne_u32_e32 vcc, 0, v24
	v_mov_b32_e32 v31, 0
	s_and_saveexec_b64 s[48:49], vcc
	s_cbranch_execz .LBB2_687
; %bb.682:                              ;   in Loop: Header=BB2_639 Depth=2
	v_bfe_u32 v22, v24, 23, 8
	v_sub_u32_e32 v24, 0x79, v22
	v_cmp_gt_u32_e32 vcc, s63, v22
	v_cndmask_b32_e32 v24, 0, v24, vcc
	v_cmp_eq_u32_e32 vcc, 0, v22
	v_cndmask_b32_e32 v24, v24, v6, vcc
	v_add_u32_e32 v23, 0xffffff81, v22
	v_add_u32_e32 v22, 20, v24
	v_or_b32_e32 v25, 0x800000, v10
	v_cndmask_b32_e32 v31, v23, v30, vcc
	v_lshlrev_b64 v[22:23], v22, -1
	v_cndmask_b32_e32 v10, v25, v10, vcc
	v_not_b32_e32 v22, v22
	v_and_b32_e32 v22, v10, v22
	v_add_u32_e32 v25, 19, v24
	v_lshrrev_b64 v[10:11], v24, v[10:11]
	v_not_b32_e32 v23, v23
	v_lshlrev_b64 v[48:49], v25, 1
	v_lshrrev_b32_e32 v25, 23, v10
	v_and_b32_e32 v23, 0, v23
	v_add3_u32 v31, v24, v31, v25
	v_bfe_u32 v24, v10, 20, 1
	v_add_u32_e32 v24, -1, v24
	v_cmp_eq_u64_e32 vcc, v[22:23], v[48:49]
	v_cndmask_b32_e32 v22, 0, v24, vcc
	v_add_u32_e32 v22, v22, v10
	v_and_b32_e32 v22, 0xfffff, v22
	v_add_co_u32_e32 v10, vcc, v22, v10
	v_add_u32_e32 v25, 6, v31
	v_addc_co_u32_e32 v11, vcc, 0, v11, vcc
	v_cmp_ne_u32_e32 vcc, 0, v25
                                        ; implicit-def: $vgpr24
	s_and_saveexec_b64 s[16:17], vcc
	s_xor_b64 s[16:17], exec, s[16:17]
; %bb.683:                              ;   in Loop: Header=BB2_639 Depth=2
	v_add_u32_e32 v22, 7, v31
	v_cmp_lt_u64_e32 vcc, s[40:41], v[10:11]
	v_cndmask_b32_e32 v24, v25, v22, vcc
	v_cndmask_b32_e64 v22, 0, 1, vcc
	v_lshrrev_b64 v[10:11], v22, v[10:11]
; %bb.684:                              ;   in Loop: Header=BB2_639 Depth=2
	s_andn2_saveexec_b64 s[16:17], s[16:17]
; %bb.685:                              ;   in Loop: Header=BB2_639 Depth=2
	v_bfe_u32 v24, v10, 23, 1
; %bb.686:                              ;   in Loop: Header=BB2_639 Depth=2
	s_or_b64 exec, exec, s[16:17]
	v_lshrrev_b64 v[10:11], 20, v[10:11]
	v_cmp_gt_i32_e32 vcc, 16, v24
	v_cndmask_b32_e32 v11, 0, v11, vcc
	v_cndmask_b32_e32 v10, 7, v10, vcc
	v_cmp_eq_u64_e64 s[16:17], 0, v[10:11]
	v_min_i32_e32 v11, 15, v24
	v_cmp_eq_u32_e32 vcc, 0, v24
	v_lshlrev_b32_e32 v11, 3, v11
	v_and_or_b32 v10, v10, 7, v11
	s_and_b64 s[16:17], vcc, s[16:17]
	v_cndmask_b32_e64 v10, v10, 0, s[16:17]
	v_or_b32_e32 v31, v10, v21
.LBB2_687:                              ;   in Loop: Header=BB2_639 Depth=2
	s_or_b64 exec, exec, s[48:49]
.LBB2_688:                              ;   in Loop: Header=BB2_639 Depth=2
	s_or_b64 exec, exec, s[46:47]
                                        ; implicit-def: $vgpr24
                                        ; implicit-def: $vgpr10_vgpr11
.LBB2_689:                              ;   in Loop: Header=BB2_639 Depth=2
	s_andn2_saveexec_b64 s[16:17], s[44:45]
; %bb.690:                              ;   in Loop: Header=BB2_639 Depth=2
	v_or_b32_sdwa v21, v24, s62 dst_sel:DWORD dst_unused:UNUSED_PAD src0_sel:BYTE_3 src1_sel:DWORD
	v_cmp_eq_u64_e32 vcc, 0, v[10:11]
	v_cndmask_b32_e32 v31, v21, v31, vcc
; %bb.691:                              ;   in Loop: Header=BB2_639 Depth=2
	s_or_b64 exec, exec, s[16:17]
	v_and_b32_sdwa v21, v42, s60 dst_sel:DWORD dst_unused:UNUSED_PAD src0_sel:WORD_1 src1_sel:DWORD
	v_lshrrev_b32_e32 v10, 16, v42
	v_cmp_ne_u16_e32 vcc, 0, v21
	v_mov_b32_e32 v11, 0
	s_and_saveexec_b64 s[16:17], vcc
	s_cbranch_execz .LBB2_697
; %bb.692:                              ;   in Loop: Header=BB2_639 Depth=2
	v_cmp_ne_u16_e32 vcc, s61, v21
	v_bfrev_b32_e32 v11, 1
	s_and_saveexec_b64 s[44:45], vcc
	s_cbranch_execz .LBB2_696
; %bb.693:                              ;   in Loop: Header=BB2_639 Depth=2
	v_bfe_u32 v21, v42, 16, 7
	v_cmp_ne_u32_e32 vcc, s62, v21
	v_mov_b32_e32 v11, 0x7f800001
	s_and_saveexec_b64 s[46:47], vcc
	s_cbranch_execz .LBB2_695
; %bb.694:                              ;   in Loop: Header=BB2_639 Depth=2
	v_and_b32_e32 v22, 7, v10
	v_ffbh_u32_e32 v11, v22
	v_min_u32_e32 v24, 32, v11
	v_subrev_u32_e32 v11, 28, v24
	v_lshlrev_b64 v[10:11], v11, v[10:11]
	v_lshrrev_b32_e32 v23, 3, v21
	v_sub_u32_e32 v11, 29, v24
	v_and_b32_e32 v10, 7, v10
	v_cmp_gt_u32_e32 vcc, 8, v21
	v_cndmask_b32_e32 v11, v23, v11, vcc
	v_cndmask_b32_e32 v10, v22, v10, vcc
	v_lshlrev_b32_sdwa v21, v7, v42 dst_sel:DWORD dst_unused:UNUSED_PAD src0_sel:DWORD src1_sel:WORD_1
	v_lshlrev_b32_e32 v10, 20, v10
	v_and_b32_e32 v21, 0x80000000, v21
	v_lshl_add_u32 v11, v11, 23, v47
	v_or3_b32 v11, v21, v11, v10
.LBB2_695:                              ;   in Loop: Header=BB2_639 Depth=2
	s_or_b64 exec, exec, s[46:47]
.LBB2_696:                              ;   in Loop: Header=BB2_639 Depth=2
	s_or_b64 exec, exec, s[44:45]
.LBB2_697:                              ;   in Loop: Header=BB2_639 Depth=2
	s_or_b64 exec, exec, s[16:17]
	v_mul_f32_e32 v11, v62, v11
	v_and_b32_sdwa v21, v11, s61 dst_sel:DWORD dst_unused:UNUSED_PAD src0_sel:BYTE_3 src1_sel:DWORD
	v_and_b32_e32 v22, 0x7f800000, v11
	v_mov_b32_e32 v23, v43
	v_and_b32_e32 v24, 0x7fffff, v11
	v_mov_b32_e32 v25, v43
	v_or_b32_e32 v10, 0x7e, v21
	v_cmp_ne_u64_e32 vcc, s[36:37], v[22:23]
	s_and_saveexec_b64 s[16:17], vcc
	s_xor_b64 s[44:45], exec, s[16:17]
	s_cbranch_execz .LBB2_707
; %bb.698:                              ;   in Loop: Header=BB2_639 Depth=2
	v_and_b32_e32 v22, 0x7fffffff, v11
	v_mov_b32_e32 v23, v43
	v_cmp_gt_u64_e32 vcc, s[38:39], v[22:23]
	s_and_saveexec_b64 s[46:47], vcc
	s_cbranch_execz .LBB2_706
; %bb.699:                              ;   in Loop: Header=BB2_639 Depth=2
	v_cmp_ne_u32_e32 vcc, 0, v11
	v_mov_b32_e32 v10, 0
	s_and_saveexec_b64 s[48:49], vcc
	s_cbranch_execz .LBB2_705
; %bb.700:                              ;   in Loop: Header=BB2_639 Depth=2
	v_bfe_u32 v10, v11, 23, 8
	v_sub_u32_e32 v22, 0x79, v10
	v_cmp_gt_u32_e32 vcc, s63, v10
	v_cndmask_b32_e32 v22, 0, v22, vcc
	v_cmp_eq_u32_e32 vcc, 0, v10
	v_cndmask_b32_e32 v37, v22, v6, vcc
	v_add_u32_e32 v11, 0xffffff81, v10
	v_or_b32_e32 v23, 0x800000, v24
	v_add_u32_e32 v10, 20, v37
	v_cndmask_b32_e32 v36, v11, v30, vcc
	v_cndmask_b32_e32 v24, v23, v24, vcc
	v_lshlrev_b64 v[10:11], v10, -1
	v_not_b32_e32 v10, v10
	v_lshrrev_b64 v[60:61], v37, v[24:25]
	v_not_b32_e32 v11, v11
	v_and_b32_e32 v10, v24, v10
	v_add_u32_e32 v22, 19, v37
	v_lshrrev_b32_e32 v24, 23, v60
	v_and_b32_e32 v11, 0, v11
	v_lshlrev_b64 v[22:23], v22, 1
	v_add3_u32 v48, v37, v36, v24
	v_bfe_u32 v24, v60, 20, 1
	v_add_u32_e32 v24, -1, v24
	v_cmp_eq_u64_e32 vcc, v[10:11], v[22:23]
	v_cndmask_b32_e32 v10, 0, v24, vcc
	v_add_u32_e32 v10, v10, v60
	v_and_b32_e32 v10, 0xfffff, v10
	v_add_co_u32_e32 v10, vcc, v10, v60
	v_add_u32_e32 v25, 6, v48
	v_addc_co_u32_e32 v11, vcc, 0, v61, vcc
	v_cmp_ne_u32_e32 vcc, 0, v25
                                        ; implicit-def: $vgpr24
	s_and_saveexec_b64 s[16:17], vcc
	s_xor_b64 s[16:17], exec, s[16:17]
; %bb.701:                              ;   in Loop: Header=BB2_639 Depth=2
	v_add_u32_e32 v22, 7, v48
	v_cmp_lt_u64_e32 vcc, s[40:41], v[10:11]
	v_cndmask_b32_e32 v24, v25, v22, vcc
	v_cndmask_b32_e64 v22, 0, 1, vcc
	v_lshrrev_b64 v[10:11], v22, v[10:11]
; %bb.702:                              ;   in Loop: Header=BB2_639 Depth=2
	s_andn2_saveexec_b64 s[16:17], s[16:17]
; %bb.703:                              ;   in Loop: Header=BB2_639 Depth=2
	v_bfe_u32 v24, v10, 23, 1
; %bb.704:                              ;   in Loop: Header=BB2_639 Depth=2
	s_or_b64 exec, exec, s[16:17]
	v_lshrrev_b64 v[10:11], 20, v[10:11]
	v_cmp_gt_i32_e32 vcc, 16, v24
	v_cndmask_b32_e32 v11, 0, v11, vcc
	v_cndmask_b32_e32 v10, 7, v10, vcc
	v_cmp_eq_u64_e64 s[16:17], 0, v[10:11]
	v_min_i32_e32 v11, 15, v24
	v_cmp_eq_u32_e32 vcc, 0, v24
	v_lshlrev_b32_e32 v11, 3, v11
	v_and_or_b32 v10, v10, 7, v11
	s_and_b64 s[16:17], vcc, s[16:17]
	v_cndmask_b32_e64 v10, v10, 0, s[16:17]
	v_or_b32_e32 v10, v10, v21
.LBB2_705:                              ;   in Loop: Header=BB2_639 Depth=2
	s_or_b64 exec, exec, s[48:49]
.LBB2_706:                              ;   in Loop: Header=BB2_639 Depth=2
	s_or_b64 exec, exec, s[46:47]
                                        ; implicit-def: $vgpr11
                                        ; implicit-def: $vgpr24_vgpr25
.LBB2_707:                              ;   in Loop: Header=BB2_639 Depth=2
	s_andn2_saveexec_b64 s[16:17], s[44:45]
; %bb.708:                              ;   in Loop: Header=BB2_639 Depth=2
	v_or_b32_sdwa v11, v11, s62 dst_sel:DWORD dst_unused:UNUSED_PAD src0_sel:BYTE_3 src1_sel:DWORD
	v_cmp_eq_u64_e32 vcc, 0, v[24:25]
	v_cndmask_b32_e32 v10, v11, v10, vcc
; %bb.709:                              ;   in Loop: Header=BB2_639 Depth=2
	s_or_b64 exec, exec, s[16:17]
	v_cmp_lt_u32_e32 vcc, s64, v42
	v_mov_b32_e32 v11, 0
	s_and_saveexec_b64 s[16:17], vcc
	s_cbranch_execz .LBB2_715
; %bb.710:                              ;   in Loop: Header=BB2_639 Depth=2
	v_lshrrev_b32_e32 v24, 24, v42
	v_cmp_ne_u32_sdwa vcc, v42, s61 src0_sel:BYTE_3 src1_sel:DWORD
	v_bfrev_b32_e32 v11, 1
	s_and_saveexec_b64 s[44:45], vcc
	s_cbranch_execz .LBB2_714
; %bb.711:                              ;   in Loop: Header=BB2_639 Depth=2
	v_bfe_u32 v21, v42, 24, 7
	v_cmp_ne_u32_e32 vcc, s62, v21
	v_mov_b32_e32 v11, 0x7f800001
	s_and_saveexec_b64 s[46:47], vcc
	s_cbranch_execz .LBB2_713
; %bb.712:                              ;   in Loop: Header=BB2_639 Depth=2
	v_and_b32_e32 v11, 7, v24
	v_ffbh_u32_e32 v22, v11
	v_min_u32_e32 v36, 32, v22
	v_lshrrev_b32_e32 v25, 3, v21
	v_subrev_u32_e32 v22, 28, v36
	v_lshlrev_b64 v[22:23], v22, v[24:25]
	v_sub_u32_e32 v23, 29, v36
	v_and_b32_e32 v22, 7, v22
	v_cmp_gt_u32_e32 vcc, 8, v21
	v_cndmask_b32_e32 v21, v25, v23, vcc
	v_cndmask_b32_e32 v11, v11, v22, vcc
	v_lshlrev_b32_sdwa v22, v7, v42 dst_sel:DWORD dst_unused:UNUSED_PAD src0_sel:DWORD src1_sel:BYTE_3
	v_lshlrev_b32_e32 v11, 20, v11
	v_and_b32_e32 v22, 0x80000000, v22
	v_lshl_add_u32 v21, v21, 23, v47
	v_or3_b32 v11, v22, v21, v11
.LBB2_713:                              ;   in Loop: Header=BB2_639 Depth=2
	s_or_b64 exec, exec, s[46:47]
.LBB2_714:                              ;   in Loop: Header=BB2_639 Depth=2
	s_or_b64 exec, exec, s[44:45]
.LBB2_715:                              ;   in Loop: Header=BB2_639 Depth=2
	s_or_b64 exec, exec, s[16:17]
	v_mul_f32_e32 v24, v62, v11
	v_and_b32_sdwa v11, v24, s61 dst_sel:DWORD dst_unused:UNUSED_PAD src0_sel:BYTE_3 src1_sel:DWORD
	v_and_b32_e32 v22, 0x7f800000, v24
	v_mov_b32_e32 v23, v43
	v_and_b32_e32 v42, 0x7fffff, v24
	v_or_b32_e32 v21, 0x7e, v11
	v_cmp_ne_u64_e32 vcc, s[36:37], v[22:23]
	s_and_saveexec_b64 s[16:17], vcc
	s_xor_b64 s[44:45], exec, s[16:17]
	s_cbranch_execz .LBB2_725
; %bb.716:                              ;   in Loop: Header=BB2_639 Depth=2
	v_and_b32_e32 v22, 0x7fffffff, v24
	v_mov_b32_e32 v23, v43
	v_cmp_gt_u64_e32 vcc, s[38:39], v[22:23]
	s_and_saveexec_b64 s[46:47], vcc
	s_cbranch_execz .LBB2_724
; %bb.717:                              ;   in Loop: Header=BB2_639 Depth=2
	v_cmp_ne_u32_e32 vcc, 0, v24
	v_mov_b32_e32 v21, 0
	s_and_saveexec_b64 s[48:49], vcc
	s_cbranch_execz .LBB2_723
; %bb.718:                              ;   in Loop: Header=BB2_639 Depth=2
	v_bfe_u32 v21, v24, 23, 8
	v_sub_u32_e32 v23, 0x79, v21
	v_cmp_gt_u32_e32 vcc, s63, v21
	v_cndmask_b32_e32 v23, 0, v23, vcc
	v_cmp_eq_u32_e32 vcc, 0, v21
	v_add_u32_e32 v22, 0xffffff81, v21
	v_or_b32_e32 v24, 0x800000, v42
	v_cndmask_b32_e32 v36, v23, v6, vcc
	v_cndmask_b32_e32 v21, v22, v30, vcc
	;; [unrolled: 1-line block ×3, first 2 shown]
	v_add_u32_e32 v22, 20, v36
	v_lshlrev_b64 v[22:23], v22, -1
	v_lshrrev_b64 v[60:61], v36, v[42:43]
	v_not_b32_e32 v23, v23
	v_not_b32_e32 v22, v22
	v_add_u32_e32 v24, 19, v36
	v_lshrrev_b32_e32 v37, 23, v60
	v_and_b32_e32 v23, 0, v23
	v_and_b32_e32 v22, v42, v22
	v_lshlrev_b64 v[24:25], v24, 1
	v_add3_u32 v49, v36, v21, v37
	v_bfe_u32 v21, v60, 20, 1
	v_add_u32_e32 v21, -1, v21
	v_cmp_eq_u64_e32 vcc, v[22:23], v[24:25]
	v_cndmask_b32_e32 v21, 0, v21, vcc
	v_add_u32_e32 v21, v21, v60
	v_and_b32_e32 v21, 0xfffff, v21
	v_add_co_u32_e32 v24, vcc, v21, v60
	v_add_u32_e32 v48, 6, v49
	v_addc_co_u32_e32 v25, vcc, 0, v61, vcc
	v_cmp_ne_u32_e32 vcc, 0, v48
                                        ; implicit-def: $vgpr21
	s_and_saveexec_b64 s[16:17], vcc
	s_xor_b64 s[16:17], exec, s[16:17]
; %bb.719:                              ;   in Loop: Header=BB2_639 Depth=2
	v_cmp_lt_u64_e32 vcc, s[40:41], v[24:25]
	v_add_u32_e32 v21, 7, v49
	v_cndmask_b32_e64 v22, 0, 1, vcc
	v_cndmask_b32_e32 v21, v48, v21, vcc
	v_lshrrev_b64 v[24:25], v22, v[24:25]
; %bb.720:                              ;   in Loop: Header=BB2_639 Depth=2
	s_andn2_saveexec_b64 s[16:17], s[16:17]
; %bb.721:                              ;   in Loop: Header=BB2_639 Depth=2
	v_bfe_u32 v21, v24, 23, 1
; %bb.722:                              ;   in Loop: Header=BB2_639 Depth=2
	s_or_b64 exec, exec, s[16:17]
	v_lshrrev_b64 v[22:23], 20, v[24:25]
	v_cmp_gt_i32_e32 vcc, 16, v21
	v_cndmask_b32_e32 v23, 0, v23, vcc
	v_cndmask_b32_e32 v22, 7, v22, vcc
	v_cmp_eq_u32_e32 vcc, 0, v21
	v_min_i32_e32 v21, 15, v21
	v_cmp_eq_u64_e64 s[16:17], 0, v[22:23]
	v_lshlrev_b32_e32 v21, 3, v21
	v_and_or_b32 v21, v22, 7, v21
	s_and_b64 s[16:17], vcc, s[16:17]
	v_cndmask_b32_e64 v21, v21, 0, s[16:17]
	v_or_b32_e32 v21, v21, v11
.LBB2_723:                              ;   in Loop: Header=BB2_639 Depth=2
	s_or_b64 exec, exec, s[48:49]
.LBB2_724:                              ;   in Loop: Header=BB2_639 Depth=2
	s_or_b64 exec, exec, s[46:47]
                                        ; implicit-def: $vgpr24
.LBB2_725:                              ;   in Loop: Header=BB2_639 Depth=2
	s_andn2_saveexec_b64 s[16:17], s[44:45]
; %bb.726:                              ;   in Loop: Header=BB2_639 Depth=2
	v_or_b32_sdwa v11, v24, s62 dst_sel:DWORD dst_unused:UNUSED_PAD src0_sel:BYTE_3 src1_sel:DWORD
	v_cmp_eq_u64_e32 vcc, 0, v[42:43]
	v_cndmask_b32_e32 v21, v11, v21, vcc
; %bb.727:                              ;   in Loop: Header=BB2_639 Depth=2
	s_or_b64 exec, exec, s[16:17]
	v_alignbit_b32 v42, v9, v33, v27
	v_cmp_ne_u16_sdwa vcc, v42, v43 src0_sel:BYTE_0 src1_sel:DWORD
	v_mov_b32_e32 v9, 0
	s_and_saveexec_b64 s[16:17], vcc
	s_cbranch_execz .LBB2_733
; %bb.728:                              ;   in Loop: Header=BB2_639 Depth=2
	v_cmp_ne_u16_sdwa vcc, v42, s61 src0_sel:BYTE_0 src1_sel:DWORD
	v_bfrev_b32_e32 v9, 1
	s_and_saveexec_b64 s[44:45], vcc
	s_cbranch_execz .LBB2_732
; %bb.729:                              ;   in Loop: Header=BB2_639 Depth=2
	v_and_b32_e32 v11, 0x7f, v42
	v_cmp_ne_u32_e32 vcc, s62, v11
	v_mov_b32_e32 v9, 0x7f800001
	s_and_saveexec_b64 s[46:47], vcc
	s_cbranch_execz .LBB2_731
; %bb.730:                              ;   in Loop: Header=BB2_639 Depth=2
	v_and_b32_e32 v9, 7, v42
	v_ffbh_u32_e32 v9, v9
	v_min_u32_e32 v9, 32, v9
	v_subrev_u32_e32 v23, 28, v9
	v_cmp_gt_u32_e32 vcc, 8, v11
	v_lshrrev_b32_e32 v22, 3, v11
	v_sub_u32_e32 v9, 29, v9
	v_cndmask_b32_e32 v11, 0, v23, vcc
	v_cndmask_b32_e32 v9, v22, v9, vcc
	v_lshlrev_b64 v[22:23], v11, v[42:43]
	v_lshlrev_b32_e32 v11, 20, v22
	v_lshlrev_b32_e32 v22, 24, v42
	v_and_b32_e32 v11, 0x700000, v11
	v_and_b32_e32 v22, 0x80000000, v22
	v_lshl_add_u32 v9, v9, 23, v47
	v_or3_b32 v9, v22, v9, v11
.LBB2_731:                              ;   in Loop: Header=BB2_639 Depth=2
	s_or_b64 exec, exec, s[46:47]
.LBB2_732:                              ;   in Loop: Header=BB2_639 Depth=2
	s_or_b64 exec, exec, s[44:45]
.LBB2_733:                              ;   in Loop: Header=BB2_639 Depth=2
	s_or_b64 exec, exec, s[16:17]
	v_mul_f32_e32 v27, v62, v9
	v_and_b32_sdwa v11, v27, s61 dst_sel:DWORD dst_unused:UNUSED_PAD src0_sel:BYTE_3 src1_sel:DWORD
	v_and_b32_e32 v22, 0x7f800000, v27
	v_mov_b32_e32 v23, v43
	v_and_b32_e32 v24, 0x7fffff, v27
	v_mov_b32_e32 v25, v43
	v_or_b32_e32 v9, 0x7e, v11
	v_cmp_ne_u64_e32 vcc, s[36:37], v[22:23]
	s_and_saveexec_b64 s[16:17], vcc
	s_xor_b64 s[44:45], exec, s[16:17]
	s_cbranch_execz .LBB2_743
; %bb.734:                              ;   in Loop: Header=BB2_639 Depth=2
	v_and_b32_e32 v22, 0x7fffffff, v27
	v_mov_b32_e32 v23, v43
	v_cmp_gt_u64_e32 vcc, s[38:39], v[22:23]
	s_and_saveexec_b64 s[46:47], vcc
	s_cbranch_execz .LBB2_742
; %bb.735:                              ;   in Loop: Header=BB2_639 Depth=2
	v_cmp_ne_u32_e32 vcc, 0, v27
	v_mov_b32_e32 v9, 0
	s_and_saveexec_b64 s[48:49], vcc
	s_cbranch_execz .LBB2_741
; %bb.736:                              ;   in Loop: Header=BB2_639 Depth=2
	v_bfe_u32 v9, v27, 23, 8
	v_sub_u32_e32 v23, 0x79, v9
	v_cmp_gt_u32_e32 vcc, s63, v9
	v_cndmask_b32_e32 v23, 0, v23, vcc
	v_cmp_eq_u32_e32 vcc, 0, v9
	v_add_u32_e32 v22, 0xffffff81, v9
	v_cndmask_b32_e32 v33, v23, v6, vcc
	v_cndmask_b32_e32 v9, v22, v30, vcc
	v_add_u32_e32 v22, 20, v33
	v_or_b32_e32 v27, 0x800000, v24
	v_lshlrev_b64 v[22:23], v22, -1
	v_cndmask_b32_e32 v24, v27, v24, vcc
	v_not_b32_e32 v22, v22
	v_and_b32_e32 v22, v24, v22
	v_add_u32_e32 v27, 19, v33
	v_lshrrev_b64 v[24:25], v33, v[24:25]
	v_not_b32_e32 v23, v23
	v_lshlrev_b64 v[48:49], v27, 1
	v_lshrrev_b32_e32 v27, 23, v24
	v_and_b32_e32 v23, 0, v23
	v_add3_u32 v33, v33, v9, v27
	v_bfe_u32 v9, v24, 20, 1
	v_add_u32_e32 v9, -1, v9
	v_cmp_eq_u64_e32 vcc, v[22:23], v[48:49]
	v_cndmask_b32_e32 v9, 0, v9, vcc
	v_add_u32_e32 v9, v9, v24
	v_and_b32_e32 v9, 0xfffff, v9
	v_add_co_u32_e32 v24, vcc, v9, v24
	v_add_u32_e32 v27, 6, v33
	v_addc_co_u32_e32 v25, vcc, 0, v25, vcc
	v_cmp_ne_u32_e32 vcc, 0, v27
                                        ; implicit-def: $vgpr9
	s_and_saveexec_b64 s[16:17], vcc
	s_xor_b64 s[16:17], exec, s[16:17]
; %bb.737:                              ;   in Loop: Header=BB2_639 Depth=2
	v_cmp_lt_u64_e32 vcc, s[40:41], v[24:25]
	v_add_u32_e32 v9, 7, v33
	v_cndmask_b32_e64 v22, 0, 1, vcc
	v_cndmask_b32_e32 v9, v27, v9, vcc
	v_lshrrev_b64 v[24:25], v22, v[24:25]
; %bb.738:                              ;   in Loop: Header=BB2_639 Depth=2
	s_andn2_saveexec_b64 s[16:17], s[16:17]
; %bb.739:                              ;   in Loop: Header=BB2_639 Depth=2
	v_bfe_u32 v9, v24, 23, 1
; %bb.740:                              ;   in Loop: Header=BB2_639 Depth=2
	s_or_b64 exec, exec, s[16:17]
	v_lshrrev_b64 v[22:23], 20, v[24:25]
	v_cmp_gt_i32_e32 vcc, 16, v9
	v_cndmask_b32_e32 v23, 0, v23, vcc
	v_cndmask_b32_e32 v22, 7, v22, vcc
	v_cmp_eq_u32_e32 vcc, 0, v9
	v_min_i32_e32 v9, 15, v9
	v_cmp_eq_u64_e64 s[16:17], 0, v[22:23]
	v_lshlrev_b32_e32 v9, 3, v9
	v_and_or_b32 v9, v22, 7, v9
	s_and_b64 s[16:17], vcc, s[16:17]
	v_cndmask_b32_e64 v9, v9, 0, s[16:17]
	v_or_b32_e32 v9, v9, v11
.LBB2_741:                              ;   in Loop: Header=BB2_639 Depth=2
	s_or_b64 exec, exec, s[48:49]
.LBB2_742:                              ;   in Loop: Header=BB2_639 Depth=2
	s_or_b64 exec, exec, s[46:47]
                                        ; implicit-def: $vgpr27
                                        ; implicit-def: $vgpr24_vgpr25
.LBB2_743:                              ;   in Loop: Header=BB2_639 Depth=2
	s_andn2_saveexec_b64 s[16:17], s[44:45]
; %bb.744:                              ;   in Loop: Header=BB2_639 Depth=2
	v_or_b32_sdwa v11, v27, s62 dst_sel:DWORD dst_unused:UNUSED_PAD src0_sel:BYTE_3 src1_sel:DWORD
	v_cmp_eq_u64_e32 vcc, 0, v[24:25]
	v_cndmask_b32_e32 v9, v11, v9, vcc
; %bb.745:                              ;   in Loop: Header=BB2_639 Depth=2
	s_or_b64 exec, exec, s[16:17]
	v_lshrrev_b16_e32 v24, 8, v42
	v_cmp_ne_u16_e32 vcc, 0, v24
	v_mov_b32_e32 v11, 0
	s_and_saveexec_b64 s[16:17], vcc
	s_cbranch_execz .LBB2_751
; %bb.746:                              ;   in Loop: Header=BB2_639 Depth=2
	v_cmp_ne_u16_e32 vcc, s61, v24
	v_bfrev_b32_e32 v11, 1
	s_and_saveexec_b64 s[44:45], vcc
	s_cbranch_execz .LBB2_750
; %bb.747:                              ;   in Loop: Header=BB2_639 Depth=2
	v_and_b32_e32 v22, 0x7f, v24
	v_cmp_ne_u32_e32 vcc, s62, v22
	v_mov_b32_e32 v11, 0x7f800001
	s_and_saveexec_b64 s[46:47], vcc
	s_cbranch_execz .LBB2_749
; %bb.748:                              ;   in Loop: Header=BB2_639 Depth=2
	v_and_b32_e32 v11, 7, v24
	v_ffbh_u32_e32 v25, v11
	v_min_u32_e32 v27, 32, v25
	v_subrev_u32_e32 v25, 28, v27
	v_lshlrev_b64 v[24:25], v25, v[24:25]
	v_lshrrev_b32_e32 v23, 3, v22
	v_sub_u32_e32 v25, 29, v27
	v_and_b32_e32 v24, 7, v24
	v_cmp_gt_u32_e32 vcc, 8, v22
	v_cndmask_b32_e32 v22, v23, v25, vcc
	v_cndmask_b32_e32 v11, v11, v24, vcc
	v_lshlrev_b32_e32 v23, 16, v42
	v_lshlrev_b32_e32 v11, 20, v11
	v_and_b32_e32 v23, 0x80000000, v23
	v_lshl_add_u32 v22, v22, 23, v47
	v_or3_b32 v11, v23, v22, v11
.LBB2_749:                              ;   in Loop: Header=BB2_639 Depth=2
	s_or_b64 exec, exec, s[46:47]
.LBB2_750:                              ;   in Loop: Header=BB2_639 Depth=2
	s_or_b64 exec, exec, s[44:45]
.LBB2_751:                              ;   in Loop: Header=BB2_639 Depth=2
	s_or_b64 exec, exec, s[16:17]
	v_mul_f32_e32 v33, v62, v11
	v_and_b32_sdwa v11, v33, s61 dst_sel:DWORD dst_unused:UNUSED_PAD src0_sel:BYTE_3 src1_sel:DWORD
	v_and_b32_e32 v22, 0x7f800000, v33
	v_mov_b32_e32 v23, v43
	v_and_b32_e32 v24, 0x7fffff, v33
	v_mov_b32_e32 v25, v43
	v_or_b32_e32 v27, 0x7e, v11
	v_cmp_ne_u64_e32 vcc, s[36:37], v[22:23]
	s_and_saveexec_b64 s[16:17], vcc
	s_xor_b64 s[44:45], exec, s[16:17]
	s_cbranch_execz .LBB2_761
; %bb.752:                              ;   in Loop: Header=BB2_639 Depth=2
	v_and_b32_e32 v22, 0x7fffffff, v33
	v_mov_b32_e32 v23, v43
	v_cmp_gt_u64_e32 vcc, s[38:39], v[22:23]
	s_and_saveexec_b64 s[46:47], vcc
	s_cbranch_execz .LBB2_760
; %bb.753:                              ;   in Loop: Header=BB2_639 Depth=2
	v_cmp_ne_u32_e32 vcc, 0, v33
	v_mov_b32_e32 v27, 0
	s_and_saveexec_b64 s[48:49], vcc
	s_cbranch_execz .LBB2_759
; %bb.754:                              ;   in Loop: Header=BB2_639 Depth=2
	v_bfe_u32 v22, v33, 23, 8
	v_sub_u32_e32 v27, 0x79, v22
	v_cmp_gt_u32_e32 vcc, s63, v22
	v_cndmask_b32_e32 v27, 0, v27, vcc
	v_cmp_eq_u32_e32 vcc, 0, v22
	v_cndmask_b32_e32 v27, v27, v6, vcc
	v_add_u32_e32 v23, 0xffffff81, v22
	v_add_u32_e32 v22, 20, v27
	v_or_b32_e32 v33, 0x800000, v24
	v_cndmask_b32_e32 v36, v23, v30, vcc
	v_lshlrev_b64 v[22:23], v22, -1
	v_cndmask_b32_e32 v24, v33, v24, vcc
	v_not_b32_e32 v22, v22
	v_and_b32_e32 v22, v24, v22
	v_add_u32_e32 v33, 19, v27
	v_lshrrev_b64 v[24:25], v27, v[24:25]
	v_not_b32_e32 v23, v23
	v_lshlrev_b64 v[60:61], v33, 1
	v_lshrrev_b32_e32 v33, 23, v24
	v_and_b32_e32 v23, 0, v23
	v_add3_u32 v48, v27, v36, v33
	v_bfe_u32 v27, v24, 20, 1
	v_add_u32_e32 v27, -1, v27
	v_cmp_eq_u64_e32 vcc, v[22:23], v[60:61]
	v_cndmask_b32_e32 v22, 0, v27, vcc
	v_add_u32_e32 v22, v22, v24
	v_and_b32_e32 v22, 0xfffff, v22
	v_add_co_u32_e32 v24, vcc, v22, v24
	v_add_u32_e32 v33, 6, v48
	v_addc_co_u32_e32 v25, vcc, 0, v25, vcc
	v_cmp_ne_u32_e32 vcc, 0, v33
                                        ; implicit-def: $vgpr27
	s_and_saveexec_b64 s[16:17], vcc
	s_xor_b64 s[16:17], exec, s[16:17]
; %bb.755:                              ;   in Loop: Header=BB2_639 Depth=2
	v_add_u32_e32 v22, 7, v48
	v_cmp_lt_u64_e32 vcc, s[40:41], v[24:25]
	v_cndmask_b32_e32 v27, v33, v22, vcc
	v_cndmask_b32_e64 v22, 0, 1, vcc
	v_lshrrev_b64 v[24:25], v22, v[24:25]
; %bb.756:                              ;   in Loop: Header=BB2_639 Depth=2
	s_andn2_saveexec_b64 s[16:17], s[16:17]
; %bb.757:                              ;   in Loop: Header=BB2_639 Depth=2
	v_bfe_u32 v27, v24, 23, 1
; %bb.758:                              ;   in Loop: Header=BB2_639 Depth=2
	s_or_b64 exec, exec, s[16:17]
	v_lshrrev_b64 v[22:23], 20, v[24:25]
	v_cmp_gt_i32_e32 vcc, 16, v27
	v_cndmask_b32_e32 v23, 0, v23, vcc
	v_cndmask_b32_e32 v22, 7, v22, vcc
	v_cmp_eq_u64_e64 s[16:17], 0, v[22:23]
	v_min_i32_e32 v23, 15, v27
	v_lshlrev_b32_e32 v23, 3, v23
	v_cmp_eq_u32_e32 vcc, 0, v27
	v_and_b32_e32 v23, 0xf8, v23
	v_and_or_b32 v22, v22, 7, v23
	s_and_b64 s[16:17], vcc, s[16:17]
	v_cndmask_b32_e64 v22, v22, 0, s[16:17]
	v_or_b32_e32 v27, v22, v11
.LBB2_759:                              ;   in Loop: Header=BB2_639 Depth=2
	s_or_b64 exec, exec, s[48:49]
.LBB2_760:                              ;   in Loop: Header=BB2_639 Depth=2
	s_or_b64 exec, exec, s[46:47]
                                        ; implicit-def: $vgpr33
                                        ; implicit-def: $vgpr24_vgpr25
.LBB2_761:                              ;   in Loop: Header=BB2_639 Depth=2
	s_andn2_saveexec_b64 s[16:17], s[44:45]
; %bb.762:                              ;   in Loop: Header=BB2_639 Depth=2
	v_or_b32_sdwa v11, v33, s62 dst_sel:DWORD dst_unused:UNUSED_PAD src0_sel:BYTE_3 src1_sel:DWORD
	v_cmp_eq_u64_e32 vcc, 0, v[24:25]
	v_cndmask_b32_e32 v27, v11, v27, vcc
; %bb.763:                              ;   in Loop: Header=BB2_639 Depth=2
	s_or_b64 exec, exec, s[16:17]
	v_and_b32_sdwa v22, v42, s60 dst_sel:DWORD dst_unused:UNUSED_PAD src0_sel:WORD_1 src1_sel:DWORD
	v_lshrrev_b32_e32 v24, 16, v42
	v_cmp_ne_u16_e32 vcc, 0, v22
	v_mov_b32_e32 v11, 0
	s_and_saveexec_b64 s[16:17], vcc
	s_cbranch_execz .LBB2_769
; %bb.764:                              ;   in Loop: Header=BB2_639 Depth=2
	v_cmp_ne_u16_e32 vcc, s61, v22
	v_bfrev_b32_e32 v11, 1
	s_and_saveexec_b64 s[44:45], vcc
	s_cbranch_execz .LBB2_768
; %bb.765:                              ;   in Loop: Header=BB2_639 Depth=2
	v_bfe_u32 v22, v42, 16, 7
	v_cmp_ne_u32_e32 vcc, s62, v22
	v_mov_b32_e32 v11, 0x7f800001
	s_and_saveexec_b64 s[46:47], vcc
	s_cbranch_execz .LBB2_767
; %bb.766:                              ;   in Loop: Header=BB2_639 Depth=2
	v_and_b32_e32 v11, 7, v24
	v_ffbh_u32_e32 v25, v11
	v_min_u32_e32 v33, 32, v25
	v_subrev_u32_e32 v25, 28, v33
	v_lshlrev_b64 v[24:25], v25, v[24:25]
	v_lshrrev_b32_e32 v23, 3, v22
	v_sub_u32_e32 v25, 29, v33
	v_and_b32_e32 v24, 7, v24
	v_cmp_gt_u32_e32 vcc, 8, v22
	v_cndmask_b32_e32 v22, v23, v25, vcc
	v_cndmask_b32_e32 v11, v11, v24, vcc
	v_lshlrev_b32_sdwa v23, v7, v42 dst_sel:DWORD dst_unused:UNUSED_PAD src0_sel:DWORD src1_sel:WORD_1
	v_lshlrev_b32_e32 v11, 20, v11
	v_and_b32_e32 v23, 0x80000000, v23
	v_lshl_add_u32 v22, v22, 23, v47
	v_or3_b32 v11, v23, v22, v11
.LBB2_767:                              ;   in Loop: Header=BB2_639 Depth=2
	s_or_b64 exec, exec, s[46:47]
.LBB2_768:                              ;   in Loop: Header=BB2_639 Depth=2
	s_or_b64 exec, exec, s[44:45]
.LBB2_769:                              ;   in Loop: Header=BB2_639 Depth=2
	s_or_b64 exec, exec, s[16:17]
	v_mul_f32_e32 v48, v62, v11
	v_and_b32_sdwa v11, v48, s61 dst_sel:DWORD dst_unused:UNUSED_PAD src0_sel:BYTE_3 src1_sel:DWORD
	v_and_b32_e32 v22, 0x7f800000, v48
	v_mov_b32_e32 v23, v43
	v_and_b32_e32 v24, 0x7fffff, v48
	v_mov_b32_e32 v25, v43
	v_or_b32_e32 v33, 0x7e, v11
	v_cmp_ne_u64_e32 vcc, s[36:37], v[22:23]
	s_and_saveexec_b64 s[16:17], vcc
	s_xor_b64 s[44:45], exec, s[16:17]
	s_cbranch_execz .LBB2_779
; %bb.770:                              ;   in Loop: Header=BB2_639 Depth=2
	v_and_b32_e32 v22, 0x7fffffff, v48
	v_mov_b32_e32 v23, v43
	v_cmp_gt_u64_e32 vcc, s[38:39], v[22:23]
	s_and_saveexec_b64 s[46:47], vcc
	s_cbranch_execz .LBB2_778
; %bb.771:                              ;   in Loop: Header=BB2_639 Depth=2
	v_cmp_ne_u32_e32 vcc, 0, v48
	v_mov_b32_e32 v33, 0
	s_and_saveexec_b64 s[48:49], vcc
	s_cbranch_execz .LBB2_777
; %bb.772:                              ;   in Loop: Header=BB2_639 Depth=2
	v_bfe_u32 v22, v48, 23, 8
	v_sub_u32_e32 v33, 0x79, v22
	v_cmp_gt_u32_e32 vcc, s63, v22
	v_cndmask_b32_e32 v33, 0, v33, vcc
	v_cmp_eq_u32_e32 vcc, 0, v22
	v_cndmask_b32_e32 v33, v33, v6, vcc
	v_add_u32_e32 v23, 0xffffff81, v22
	v_add_u32_e32 v22, 20, v33
	v_or_b32_e32 v36, 0x800000, v24
	v_cndmask_b32_e32 v37, v23, v30, vcc
	v_lshlrev_b64 v[22:23], v22, -1
	v_cndmask_b32_e32 v24, v36, v24, vcc
	v_not_b32_e32 v22, v22
	v_and_b32_e32 v22, v24, v22
	v_add_u32_e32 v36, 19, v33
	v_lshrrev_b64 v[24:25], v33, v[24:25]
	v_not_b32_e32 v23, v23
	v_lshlrev_b64 v[60:61], v36, 1
	v_lshrrev_b32_e32 v36, 23, v24
	v_and_b32_e32 v23, 0, v23
	v_add3_u32 v49, v33, v37, v36
	v_bfe_u32 v33, v24, 20, 1
	v_add_u32_e32 v33, -1, v33
	v_cmp_eq_u64_e32 vcc, v[22:23], v[60:61]
	v_cndmask_b32_e32 v22, 0, v33, vcc
	v_add_u32_e32 v22, v22, v24
	v_and_b32_e32 v22, 0xfffff, v22
	v_add_co_u32_e32 v24, vcc, v22, v24
	v_add_u32_e32 v48, 6, v49
	v_addc_co_u32_e32 v25, vcc, 0, v25, vcc
	v_cmp_ne_u32_e32 vcc, 0, v48
                                        ; implicit-def: $vgpr33
	s_and_saveexec_b64 s[16:17], vcc
	s_xor_b64 s[16:17], exec, s[16:17]
; %bb.773:                              ;   in Loop: Header=BB2_639 Depth=2
	v_add_u32_e32 v22, 7, v49
	v_cmp_lt_u64_e32 vcc, s[40:41], v[24:25]
	v_cndmask_b32_e32 v33, v48, v22, vcc
	v_cndmask_b32_e64 v22, 0, 1, vcc
	v_lshrrev_b64 v[24:25], v22, v[24:25]
; %bb.774:                              ;   in Loop: Header=BB2_639 Depth=2
	s_andn2_saveexec_b64 s[16:17], s[16:17]
; %bb.775:                              ;   in Loop: Header=BB2_639 Depth=2
	v_bfe_u32 v33, v24, 23, 1
; %bb.776:                              ;   in Loop: Header=BB2_639 Depth=2
	s_or_b64 exec, exec, s[16:17]
	v_lshrrev_b64 v[22:23], 20, v[24:25]
	v_cmp_gt_i32_e32 vcc, 16, v33
	v_cndmask_b32_e32 v23, 0, v23, vcc
	v_cndmask_b32_e32 v22, 7, v22, vcc
	v_cmp_eq_u64_e64 s[16:17], 0, v[22:23]
	v_min_i32_e32 v23, 15, v33
	v_lshlrev_b32_e32 v23, 3, v23
	v_cmp_eq_u32_e32 vcc, 0, v33
	v_and_b32_e32 v23, 0xf8, v23
	v_and_or_b32 v22, v22, 7, v23
	s_and_b64 s[16:17], vcc, s[16:17]
	v_cndmask_b32_e64 v22, v22, 0, s[16:17]
	v_or_b32_e32 v33, v22, v11
.LBB2_777:                              ;   in Loop: Header=BB2_639 Depth=2
	s_or_b64 exec, exec, s[48:49]
.LBB2_778:                              ;   in Loop: Header=BB2_639 Depth=2
	s_or_b64 exec, exec, s[46:47]
                                        ; implicit-def: $vgpr48
                                        ; implicit-def: $vgpr24_vgpr25
.LBB2_779:                              ;   in Loop: Header=BB2_639 Depth=2
	s_andn2_saveexec_b64 s[16:17], s[44:45]
; %bb.780:                              ;   in Loop: Header=BB2_639 Depth=2
	v_or_b32_sdwa v11, v48, s62 dst_sel:DWORD dst_unused:UNUSED_PAD src0_sel:BYTE_3 src1_sel:DWORD
	v_cmp_eq_u64_e32 vcc, 0, v[24:25]
	v_cndmask_b32_e32 v33, v11, v33, vcc
; %bb.781:                              ;   in Loop: Header=BB2_639 Depth=2
	s_or_b64 exec, exec, s[16:17]
	v_cmp_lt_u32_e32 vcc, s64, v42
	v_mov_b32_e32 v11, 0
	s_and_saveexec_b64 s[16:17], vcc
	s_cbranch_execz .LBB2_787
; %bb.782:                              ;   in Loop: Header=BB2_639 Depth=2
	v_lshrrev_b32_e32 v24, 24, v42
	v_cmp_ne_u32_sdwa vcc, v42, s61 src0_sel:BYTE_3 src1_sel:DWORD
	v_bfrev_b32_e32 v11, 1
	s_and_saveexec_b64 s[44:45], vcc
	s_cbranch_execz .LBB2_786
; %bb.783:                              ;   in Loop: Header=BB2_639 Depth=2
	v_bfe_u32 v22, v42, 24, 7
	v_cmp_ne_u32_e32 vcc, s62, v22
	v_mov_b32_e32 v11, 0x7f800001
	s_and_saveexec_b64 s[46:47], vcc
	s_cbranch_execz .LBB2_785
; %bb.784:                              ;   in Loop: Header=BB2_639 Depth=2
	v_and_b32_e32 v11, 7, v24
	v_ffbh_u32_e32 v25, v11
	v_min_u32_e32 v36, 32, v25
	v_subrev_u32_e32 v25, 28, v36
	v_lshlrev_b64 v[24:25], v25, v[24:25]
	v_lshrrev_b32_e32 v23, 3, v22
	v_sub_u32_e32 v25, 29, v36
	v_and_b32_e32 v24, 7, v24
	v_cmp_gt_u32_e32 vcc, 8, v22
	v_cndmask_b32_e32 v22, v23, v25, vcc
	v_cndmask_b32_e32 v11, v11, v24, vcc
	v_lshlrev_b32_sdwa v23, v7, v42 dst_sel:DWORD dst_unused:UNUSED_PAD src0_sel:DWORD src1_sel:BYTE_3
	v_lshlrev_b32_e32 v11, 20, v11
	v_and_b32_e32 v23, 0x80000000, v23
	v_lshl_add_u32 v22, v22, 23, v47
	v_or3_b32 v11, v23, v22, v11
.LBB2_785:                              ;   in Loop: Header=BB2_639 Depth=2
	s_or_b64 exec, exec, s[46:47]
.LBB2_786:                              ;   in Loop: Header=BB2_639 Depth=2
	s_or_b64 exec, exec, s[44:45]
.LBB2_787:                              ;   in Loop: Header=BB2_639 Depth=2
	s_or_b64 exec, exec, s[16:17]
	v_mul_f32_e32 v24, v62, v11
	v_and_b32_sdwa v11, v24, s61 dst_sel:DWORD dst_unused:UNUSED_PAD src0_sel:BYTE_3 src1_sel:DWORD
	v_and_b32_e32 v22, 0x7f800000, v24
	v_mov_b32_e32 v23, v43
	v_and_b32_e32 v42, 0x7fffff, v24
	v_or_b32_e32 v48, 0x7e, v11
	v_cmp_ne_u64_e32 vcc, s[36:37], v[22:23]
	s_and_saveexec_b64 s[16:17], vcc
	s_xor_b64 s[44:45], exec, s[16:17]
	s_cbranch_execz .LBB2_797
; %bb.788:                              ;   in Loop: Header=BB2_639 Depth=2
	v_and_b32_e32 v22, 0x7fffffff, v24
	v_mov_b32_e32 v23, v43
	v_cmp_gt_u64_e32 vcc, s[38:39], v[22:23]
	s_and_saveexec_b64 s[46:47], vcc
	s_cbranch_execz .LBB2_796
; %bb.789:                              ;   in Loop: Header=BB2_639 Depth=2
	v_cmp_ne_u32_e32 vcc, 0, v24
	v_mov_b32_e32 v48, 0
	s_and_saveexec_b64 s[48:49], vcc
	s_cbranch_execz .LBB2_795
; %bb.790:                              ;   in Loop: Header=BB2_639 Depth=2
	v_bfe_u32 v22, v24, 23, 8
	v_sub_u32_e32 v24, 0x79, v22
	v_cmp_gt_u32_e32 vcc, s63, v22
	v_cndmask_b32_e32 v24, 0, v24, vcc
	v_cmp_eq_u32_e32 vcc, 0, v22
	v_or_b32_e32 v25, 0x800000, v42
	v_cndmask_b32_e32 v37, v24, v6, vcc
	v_add_u32_e32 v23, 0xffffff81, v22
	v_cndmask_b32_e32 v42, v25, v42, vcc
	v_add_u32_e32 v22, 20, v37
	v_cndmask_b32_e32 v36, v23, v30, vcc
	v_lshlrev_b64 v[22:23], v22, -1
	v_lshrrev_b64 v[60:61], v37, v[42:43]
	v_not_b32_e32 v23, v23
	v_not_b32_e32 v22, v22
	v_add_u32_e32 v24, 19, v37
	v_lshrrev_b32_e32 v48, 23, v60
	v_and_b32_e32 v23, 0, v23
	v_and_b32_e32 v22, v42, v22
	v_lshlrev_b64 v[24:25], v24, 1
	v_add3_u32 v42, v37, v36, v48
	v_bfe_u32 v36, v60, 20, 1
	v_add_u32_e32 v36, -1, v36
	v_cmp_eq_u64_e32 vcc, v[22:23], v[24:25]
	v_cndmask_b32_e32 v22, 0, v36, vcc
	v_add_u32_e32 v22, v22, v60
	v_and_b32_e32 v22, 0xfffff, v22
	v_add_co_u32_e32 v24, vcc, v22, v60
	v_add_u32_e32 v49, 6, v42
	v_addc_co_u32_e32 v25, vcc, 0, v61, vcc
	v_cmp_ne_u32_e32 vcc, 0, v49
                                        ; implicit-def: $vgpr48
	s_and_saveexec_b64 s[16:17], vcc
	s_xor_b64 s[16:17], exec, s[16:17]
; %bb.791:                              ;   in Loop: Header=BB2_639 Depth=2
	v_add_u32_e32 v22, 7, v42
	v_cmp_lt_u64_e32 vcc, s[40:41], v[24:25]
	v_cndmask_b32_e32 v48, v49, v22, vcc
	v_cndmask_b32_e64 v22, 0, 1, vcc
	v_lshrrev_b64 v[24:25], v22, v[24:25]
; %bb.792:                              ;   in Loop: Header=BB2_639 Depth=2
	s_andn2_saveexec_b64 s[16:17], s[16:17]
; %bb.793:                              ;   in Loop: Header=BB2_639 Depth=2
	v_bfe_u32 v48, v24, 23, 1
; %bb.794:                              ;   in Loop: Header=BB2_639 Depth=2
	s_or_b64 exec, exec, s[16:17]
	v_lshrrev_b64 v[22:23], 20, v[24:25]
	v_cmp_gt_i32_e32 vcc, 16, v48
	v_cndmask_b32_e32 v23, 0, v23, vcc
	v_cndmask_b32_e32 v22, 7, v22, vcc
	v_cmp_eq_u64_e64 s[16:17], 0, v[22:23]
	v_min_i32_e32 v23, 15, v48
	v_lshlrev_b32_e32 v23, 3, v23
	v_cmp_eq_u32_e32 vcc, 0, v48
	v_and_b32_e32 v23, 0xf8, v23
	v_and_or_b32 v22, v22, 7, v23
	s_and_b64 s[16:17], vcc, s[16:17]
	v_cndmask_b32_e64 v22, v22, 0, s[16:17]
	v_or_b32_e32 v48, v22, v11
.LBB2_795:                              ;   in Loop: Header=BB2_639 Depth=2
	s_or_b64 exec, exec, s[48:49]
.LBB2_796:                              ;   in Loop: Header=BB2_639 Depth=2
	s_or_b64 exec, exec, s[46:47]
                                        ; implicit-def: $vgpr24
.LBB2_797:                              ;   in Loop: Header=BB2_639 Depth=2
	s_andn2_saveexec_b64 s[16:17], s[44:45]
; %bb.798:                              ;   in Loop: Header=BB2_639 Depth=2
	v_or_b32_sdwa v11, v24, s62 dst_sel:DWORD dst_unused:UNUSED_PAD src0_sel:BYTE_3 src1_sel:DWORD
	v_cmp_eq_u64_e32 vcc, 0, v[42:43]
	v_cndmask_b32_e32 v48, v11, v48, vcc
; %bb.799:                              ;   in Loop: Header=BB2_639 Depth=2
	s_or_b64 exec, exec, s[16:17]
	s_waitcnt vmcnt(0)
	v_cmp_ne_u16_sdwa vcc, v2, v43 src0_sel:BYTE_0 src1_sel:DWORD
	v_mov_b32_e32 v24, 0
	v_mov_b32_e32 v11, 0
	s_and_saveexec_b64 s[16:17], vcc
	s_cbranch_execz .LBB2_805
; %bb.800:                              ;   in Loop: Header=BB2_639 Depth=2
	v_cmp_ne_u16_sdwa vcc, v2, s61 src0_sel:BYTE_0 src1_sel:DWORD
	v_bfrev_b32_e32 v11, 1
	s_and_saveexec_b64 s[44:45], vcc
	s_cbranch_execz .LBB2_804
; %bb.801:                              ;   in Loop: Header=BB2_639 Depth=2
	v_and_b32_e32 v22, 0x7f, v2
	v_cmp_ne_u32_e32 vcc, s62, v22
	v_mov_b32_e32 v11, 0x7f800001
	s_and_saveexec_b64 s[46:47], vcc
	s_cbranch_execz .LBB2_803
; %bb.802:                              ;   in Loop: Header=BB2_639 Depth=2
	v_and_b32_e32 v11, 7, v2
	v_ffbh_u32_e32 v11, v11
	v_min_u32_e32 v11, 32, v11
	v_subrev_u32_e32 v25, 28, v11
	v_cmp_gt_u32_e32 vcc, 8, v22
	v_lshrrev_b32_e32 v23, 3, v22
	v_sub_u32_e32 v11, 29, v11
	v_cndmask_b32_e32 v22, 0, v25, vcc
	v_cndmask_b32_e32 v11, v23, v11, vcc
	v_lshlrev_b64 v[22:23], v22, v[2:3]
	v_lshlrev_b32_e32 v3, 20, v22
	v_lshlrev_b32_e32 v22, 24, v2
	v_and_b32_e32 v3, 0x700000, v3
	v_and_b32_e32 v22, 0x80000000, v22
	v_lshl_add_u32 v11, v11, 23, v47
	v_or3_b32 v11, v22, v11, v3
.LBB2_803:                              ;   in Loop: Header=BB2_639 Depth=2
	s_or_b64 exec, exec, s[46:47]
.LBB2_804:                              ;   in Loop: Header=BB2_639 Depth=2
	s_or_b64 exec, exec, s[44:45]
.LBB2_805:                              ;   in Loop: Header=BB2_639 Depth=2
	s_or_b64 exec, exec, s[16:17]
	v_lshlrev_b32_e32 v3, 8, v31
	v_cmp_ne_u16_sdwa vcc, v8, v43 src0_sel:BYTE_0 src1_sel:DWORD
	s_and_saveexec_b64 s[16:17], vcc
	s_cbranch_execz .LBB2_811
; %bb.806:                              ;   in Loop: Header=BB2_639 Depth=2
	v_cmp_ne_u16_sdwa vcc, v8, s61 src0_sel:BYTE_0 src1_sel:DWORD
	v_bfrev_b32_e32 v24, 1
	s_and_saveexec_b64 s[44:45], vcc
	s_cbranch_execz .LBB2_810
; %bb.807:                              ;   in Loop: Header=BB2_639 Depth=2
	v_and_b32_e32 v22, 0x7f, v8
	v_cmp_ne_u32_e32 vcc, s62, v22
	v_mov_b32_e32 v24, 0x7f800001
	s_and_saveexec_b64 s[46:47], vcc
	s_cbranch_execz .LBB2_809
; %bb.808:                              ;   in Loop: Header=BB2_639 Depth=2
	v_and_b32_e32 v23, 7, v8
	v_ffbh_u32_e32 v23, v23
	v_min_u32_e32 v23, 32, v23
	v_lshrrev_b32_e32 v25, 3, v22
	v_subrev_u32_e32 v31, 28, v23
	v_sub_u32_e32 v23, 29, v23
	v_cmp_gt_u32_e32 vcc, 8, v22
	v_perm_b32 v24, v3, v8, s65
	v_cndmask_b32_e32 v25, v25, v23, vcc
	v_cndmask_b32_e32 v22, 0, v31, vcc
	v_lshlrev_b64 v[22:23], v22, v[24:25]
	v_lshlrev_b32_e32 v22, 20, v22
	v_lshlrev_b32_e32 v8, 24, v8
	v_and_b32_e32 v22, 0x700000, v22
	v_and_b32_e32 v8, 0x80000000, v8
	v_lshl_add_u32 v23, v25, 23, v47
	v_or3_b32 v24, v8, v23, v22
.LBB2_809:                              ;   in Loop: Header=BB2_639 Depth=2
	s_or_b64 exec, exec, s[46:47]
.LBB2_810:                              ;   in Loop: Header=BB2_639 Depth=2
	s_or_b64 exec, exec, s[44:45]
.LBB2_811:                              ;   in Loop: Header=BB2_639 Depth=2
	s_or_b64 exec, exec, s[16:17]
	v_add_f32_e32 v24, v11, v24
	v_and_b32_sdwa v11, v24, s61 dst_sel:DWORD dst_unused:UNUSED_PAD src0_sel:BYTE_3 src1_sel:DWORD
	v_and_b32_e32 v22, 0x7f800000, v24
	v_mov_b32_e32 v23, v43
	v_and_b32_e32 v42, 0x7fffff, v24
	v_or_b32_e32 v8, 0x7e, v11
	v_cmp_ne_u64_e32 vcc, s[36:37], v[22:23]
	s_and_saveexec_b64 s[16:17], vcc
	s_xor_b64 s[44:45], exec, s[16:17]
	s_cbranch_execz .LBB2_821
; %bb.812:                              ;   in Loop: Header=BB2_639 Depth=2
	v_and_b32_e32 v22, 0x7fffffff, v24
	v_mov_b32_e32 v23, v43
	v_cmp_gt_u64_e32 vcc, s[38:39], v[22:23]
	s_and_saveexec_b64 s[46:47], vcc
	s_cbranch_execz .LBB2_820
; %bb.813:                              ;   in Loop: Header=BB2_639 Depth=2
	v_cmp_ne_u32_e32 vcc, 0, v24
	v_mov_b32_e32 v8, 0
	s_and_saveexec_b64 s[48:49], vcc
	s_cbranch_execz .LBB2_819
; %bb.814:                              ;   in Loop: Header=BB2_639 Depth=2
	v_bfe_u32 v8, v24, 23, 8
	v_sub_u32_e32 v23, 0x79, v8
	v_cmp_gt_u32_e32 vcc, s63, v8
	v_cndmask_b32_e32 v23, 0, v23, vcc
	v_cmp_eq_u32_e32 vcc, 0, v8
	v_add_u32_e32 v22, 0xffffff81, v8
	v_or_b32_e32 v24, 0x800000, v42
	v_cndmask_b32_e32 v31, v23, v6, vcc
	v_cndmask_b32_e32 v8, v22, v30, vcc
	;; [unrolled: 1-line block ×3, first 2 shown]
	v_add_u32_e32 v22, 20, v31
	v_lshlrev_b64 v[22:23], v22, -1
	v_lshrrev_b64 v[60:61], v31, v[42:43]
	v_not_b32_e32 v23, v23
	v_not_b32_e32 v22, v22
	v_add_u32_e32 v24, 19, v31
	v_lshrrev_b32_e32 v36, 23, v60
	v_and_b32_e32 v23, 0, v23
	v_and_b32_e32 v22, v42, v22
	v_lshlrev_b64 v[24:25], v24, 1
	v_add3_u32 v49, v31, v8, v36
	v_bfe_u32 v8, v60, 20, 1
	v_add_u32_e32 v8, -1, v8
	v_cmp_eq_u64_e32 vcc, v[22:23], v[24:25]
	v_cndmask_b32_e32 v8, 0, v8, vcc
	v_add_u32_e32 v8, v8, v60
	v_and_b32_e32 v8, 0xfffff, v8
	v_add_co_u32_e32 v24, vcc, v8, v60
	v_add_u32_e32 v31, 6, v49
	v_addc_co_u32_e32 v25, vcc, 0, v61, vcc
	v_cmp_ne_u32_e32 vcc, 0, v31
                                        ; implicit-def: $vgpr8
	s_and_saveexec_b64 s[16:17], vcc
	s_xor_b64 s[16:17], exec, s[16:17]
; %bb.815:                              ;   in Loop: Header=BB2_639 Depth=2
	v_cmp_lt_u64_e32 vcc, s[40:41], v[24:25]
	v_add_u32_e32 v8, 7, v49
	v_cndmask_b32_e64 v22, 0, 1, vcc
	v_cndmask_b32_e32 v8, v31, v8, vcc
	v_lshrrev_b64 v[24:25], v22, v[24:25]
; %bb.816:                              ;   in Loop: Header=BB2_639 Depth=2
	s_andn2_saveexec_b64 s[16:17], s[16:17]
; %bb.817:                              ;   in Loop: Header=BB2_639 Depth=2
	v_bfe_u32 v8, v24, 23, 1
; %bb.818:                              ;   in Loop: Header=BB2_639 Depth=2
	s_or_b64 exec, exec, s[16:17]
	v_lshrrev_b64 v[22:23], 20, v[24:25]
	v_cmp_gt_i32_e32 vcc, 16, v8
	v_cndmask_b32_e32 v23, 0, v23, vcc
	v_cndmask_b32_e32 v22, 7, v22, vcc
	v_cmp_eq_u32_e32 vcc, 0, v8
	v_min_i32_e32 v8, 15, v8
	v_cmp_eq_u64_e64 s[16:17], 0, v[22:23]
	v_lshlrev_b32_e32 v8, 3, v8
	v_and_or_b32 v8, v22, 7, v8
	s_and_b64 s[16:17], vcc, s[16:17]
	v_cndmask_b32_e64 v8, v8, 0, s[16:17]
	v_or_b32_e32 v8, v8, v11
.LBB2_819:                              ;   in Loop: Header=BB2_639 Depth=2
	s_or_b64 exec, exec, s[48:49]
.LBB2_820:                              ;   in Loop: Header=BB2_639 Depth=2
	s_or_b64 exec, exec, s[46:47]
                                        ; implicit-def: $vgpr24
.LBB2_821:                              ;   in Loop: Header=BB2_639 Depth=2
	s_andn2_saveexec_b64 s[16:17], s[44:45]
; %bb.822:                              ;   in Loop: Header=BB2_639 Depth=2
	v_or_b32_sdwa v11, v24, s62 dst_sel:DWORD dst_unused:UNUSED_PAD src0_sel:BYTE_3 src1_sel:DWORD
	v_cmp_eq_u64_e32 vcc, 0, v[42:43]
	v_cndmask_b32_e32 v8, v11, v8, vcc
; %bb.823:                              ;   in Loop: Header=BB2_639 Depth=2
	s_or_b64 exec, exec, s[16:17]
	v_lshrrev_b16_e32 v24, 8, v2
	v_cmp_ne_u16_e32 vcc, 0, v24
	v_mov_b32_e32 v11, 0
	v_mov_b32_e32 v25, 0
	s_and_saveexec_b64 s[16:17], vcc
	s_cbranch_execz .LBB2_829
; %bb.824:                              ;   in Loop: Header=BB2_639 Depth=2
	v_cmp_ne_u16_e32 vcc, s61, v24
	v_bfrev_b32_e32 v25, 1
	s_and_saveexec_b64 s[44:45], vcc
	s_cbranch_execz .LBB2_828
; %bb.825:                              ;   in Loop: Header=BB2_639 Depth=2
	v_and_b32_e32 v22, 0x7f, v24
	v_cmp_ne_u32_e32 vcc, s62, v22
	v_mov_b32_e32 v25, 0x7f800001
	s_and_saveexec_b64 s[46:47], vcc
	s_cbranch_execz .LBB2_827
; %bb.826:                              ;   in Loop: Header=BB2_639 Depth=2
	v_and_b32_e32 v23, 7, v24
	v_ffbh_u32_e32 v25, v23
	v_min_u32_e32 v36, 32, v25
	v_subrev_u32_e32 v25, 28, v36
	v_lshlrev_b64 v[24:25], v25, v[24:25]
	v_lshrrev_b32_e32 v31, 3, v22
	v_sub_u32_e32 v25, 29, v36
	v_and_b32_e32 v24, 7, v24
	v_cmp_gt_u32_e32 vcc, 8, v22
	v_cndmask_b32_e32 v22, v31, v25, vcc
	v_cndmask_b32_e32 v23, v23, v24, vcc
	v_lshlrev_b32_e32 v24, 16, v2
	v_lshlrev_b32_e32 v23, 20, v23
	v_and_b32_e32 v24, 0x80000000, v24
	v_lshl_add_u32 v22, v22, 23, v47
	v_or3_b32 v25, v24, v22, v23
.LBB2_827:                              ;   in Loop: Header=BB2_639 Depth=2
	s_or_b64 exec, exec, s[46:47]
.LBB2_828:                              ;   in Loop: Header=BB2_639 Depth=2
	s_or_b64 exec, exec, s[44:45]
.LBB2_829:                              ;   in Loop: Header=BB2_639 Depth=2
	s_or_b64 exec, exec, s[16:17]
	v_lshrrev_b16_e32 v24, 8, v3
	v_cmp_ne_u16_e32 vcc, 0, v24
	s_and_saveexec_b64 s[16:17], vcc
	s_cbranch_execz .LBB2_835
; %bb.830:                              ;   in Loop: Header=BB2_639 Depth=2
	v_cmp_ne_u16_e32 vcc, s61, v24
	v_bfrev_b32_e32 v11, 1
	s_and_saveexec_b64 s[44:45], vcc
	s_cbranch_execz .LBB2_834
; %bb.831:                              ;   in Loop: Header=BB2_639 Depth=2
	v_and_b32_e32 v22, 0x7f, v24
	v_cmp_ne_u32_e32 vcc, s62, v22
	v_mov_b32_e32 v11, 0x7f800001
	s_and_saveexec_b64 s[46:47], vcc
	s_cbranch_execz .LBB2_833
; %bb.832:                              ;   in Loop: Header=BB2_639 Depth=2
	v_and_b32_e32 v11, 7, v24
	v_ffbh_u32_e32 v31, v11
	v_min_u32_e32 v31, 32, v31
	v_subrev_u32_e32 v36, 28, v31
	v_lshlrev_b64 v[60:61], v36, v[24:25]
	v_lshrrev_b32_e32 v23, 3, v22
	v_sub_u32_e32 v24, 29, v31
	v_and_b32_e32 v31, 7, v60
	v_cmp_gt_u32_e32 vcc, 8, v22
	v_cndmask_b32_e32 v22, v23, v24, vcc
	v_cndmask_b32_e32 v11, v11, v31, vcc
	v_lshlrev_b32_e32 v3, 16, v3
	v_lshlrev_b32_e32 v11, 20, v11
	v_and_b32_e32 v3, 0x80000000, v3
	v_lshl_add_u32 v22, v22, 23, v47
	v_or3_b32 v11, v3, v22, v11
.LBB2_833:                              ;   in Loop: Header=BB2_639 Depth=2
	s_or_b64 exec, exec, s[46:47]
.LBB2_834:                              ;   in Loop: Header=BB2_639 Depth=2
	s_or_b64 exec, exec, s[44:45]
.LBB2_835:                              ;   in Loop: Header=BB2_639 Depth=2
	s_or_b64 exec, exec, s[16:17]
	v_add_f32_e32 v11, v25, v11
	v_and_b32_sdwa v3, v11, s61 dst_sel:DWORD dst_unused:UNUSED_PAD src0_sel:BYTE_3 src1_sel:DWORD
	v_and_b32_e32 v22, 0x7f800000, v11
	v_mov_b32_e32 v23, v43
	v_and_b32_e32 v42, 0x7fffff, v11
	v_or_b32_e32 v25, 0x7e, v3
	v_cmp_ne_u64_e32 vcc, s[36:37], v[22:23]
	s_and_saveexec_b64 s[16:17], vcc
	s_xor_b64 s[44:45], exec, s[16:17]
	s_cbranch_execz .LBB2_845
; %bb.836:                              ;   in Loop: Header=BB2_639 Depth=2
	v_and_b32_e32 v22, 0x7fffffff, v11
	v_mov_b32_e32 v23, v43
	v_cmp_gt_u64_e32 vcc, s[38:39], v[22:23]
	s_and_saveexec_b64 s[46:47], vcc
	s_cbranch_execz .LBB2_844
; %bb.837:                              ;   in Loop: Header=BB2_639 Depth=2
	v_cmp_ne_u32_e32 vcc, 0, v11
	v_mov_b32_e32 v25, 0
	s_and_saveexec_b64 s[48:49], vcc
	s_cbranch_execz .LBB2_843
; %bb.838:                              ;   in Loop: Header=BB2_639 Depth=2
	v_bfe_u32 v11, v11, 23, 8
	v_sub_u32_e32 v23, 0x79, v11
	v_cmp_gt_u32_e32 vcc, s63, v11
	v_cndmask_b32_e32 v23, 0, v23, vcc
	v_cmp_eq_u32_e32 vcc, 0, v11
	v_add_u32_e32 v22, 0xffffff81, v11
	v_or_b32_e32 v24, 0x800000, v42
	v_cndmask_b32_e32 v31, v23, v6, vcc
	v_cndmask_b32_e32 v11, v22, v30, vcc
	;; [unrolled: 1-line block ×3, first 2 shown]
	v_add_u32_e32 v22, 20, v31
	v_lshlrev_b64 v[22:23], v22, -1
	v_lshrrev_b64 v[60:61], v31, v[42:43]
	v_not_b32_e32 v23, v23
	v_not_b32_e32 v22, v22
	v_add_u32_e32 v24, 19, v31
	v_lshrrev_b32_e32 v36, 23, v60
	v_and_b32_e32 v23, 0, v23
	v_and_b32_e32 v22, v42, v22
	v_lshlrev_b64 v[24:25], v24, 1
	v_add3_u32 v49, v31, v11, v36
	v_bfe_u32 v11, v60, 20, 1
	v_add_u32_e32 v11, -1, v11
	v_cmp_eq_u64_e32 vcc, v[22:23], v[24:25]
	v_cndmask_b32_e32 v11, 0, v11, vcc
	v_add_u32_e32 v11, v11, v60
	v_and_b32_e32 v11, 0xfffff, v11
	v_add_co_u32_e32 v24, vcc, v11, v60
	v_add_u32_e32 v31, 6, v49
	v_addc_co_u32_e32 v25, vcc, 0, v61, vcc
	v_cmp_ne_u32_e32 vcc, 0, v31
                                        ; implicit-def: $vgpr11
	s_and_saveexec_b64 s[16:17], vcc
	s_xor_b64 s[16:17], exec, s[16:17]
; %bb.839:                              ;   in Loop: Header=BB2_639 Depth=2
	v_cmp_lt_u64_e32 vcc, s[40:41], v[24:25]
	v_add_u32_e32 v11, 7, v49
	v_cndmask_b32_e64 v22, 0, 1, vcc
	v_cndmask_b32_e32 v11, v31, v11, vcc
	v_lshrrev_b64 v[24:25], v22, v[24:25]
; %bb.840:                              ;   in Loop: Header=BB2_639 Depth=2
	s_andn2_saveexec_b64 s[16:17], s[16:17]
; %bb.841:                              ;   in Loop: Header=BB2_639 Depth=2
	v_bfe_u32 v11, v24, 23, 1
; %bb.842:                              ;   in Loop: Header=BB2_639 Depth=2
	s_or_b64 exec, exec, s[16:17]
	v_lshrrev_b64 v[22:23], 20, v[24:25]
	v_cmp_gt_i32_e32 vcc, 16, v11
	v_cndmask_b32_e32 v23, 0, v23, vcc
	v_cndmask_b32_e32 v22, 7, v22, vcc
	v_cmp_eq_u32_e32 vcc, 0, v11
	v_min_i32_e32 v11, 15, v11
	v_cmp_eq_u64_e64 s[16:17], 0, v[22:23]
	v_lshlrev_b32_e32 v11, 3, v11
	v_and_or_b32 v11, v22, 7, v11
	s_and_b64 s[16:17], vcc, s[16:17]
	v_cndmask_b32_e64 v11, v11, 0, s[16:17]
	v_or_b32_e32 v25, v11, v3
.LBB2_843:                              ;   in Loop: Header=BB2_639 Depth=2
	s_or_b64 exec, exec, s[48:49]
.LBB2_844:                              ;   in Loop: Header=BB2_639 Depth=2
	s_or_b64 exec, exec, s[46:47]
                                        ; implicit-def: $vgpr11
.LBB2_845:                              ;   in Loop: Header=BB2_639 Depth=2
	s_andn2_saveexec_b64 s[16:17], s[44:45]
; %bb.846:                              ;   in Loop: Header=BB2_639 Depth=2
	v_or_b32_sdwa v3, v11, s62 dst_sel:DWORD dst_unused:UNUSED_PAD src0_sel:BYTE_3 src1_sel:DWORD
	v_cmp_eq_u64_e32 vcc, 0, v[42:43]
	v_cndmask_b32_e32 v25, v3, v25, vcc
; %bb.847:                              ;   in Loop: Header=BB2_639 Depth=2
	s_or_b64 exec, exec, s[16:17]
	v_lshrrev_b32_e32 v24, 16, v2
	v_cmp_ne_u16_sdwa vcc, v24, v43 src0_sel:BYTE_0 src1_sel:DWORD
	v_mov_b32_e32 v3, 0
	v_mov_b32_e32 v11, 0
	s_and_saveexec_b64 s[16:17], vcc
	s_cbranch_execz .LBB2_853
; %bb.848:                              ;   in Loop: Header=BB2_639 Depth=2
	v_cmp_ne_u16_sdwa vcc, v24, s61 src0_sel:BYTE_0 src1_sel:DWORD
	v_bfrev_b32_e32 v11, 1
	s_and_saveexec_b64 s[44:45], vcc
	s_cbranch_execz .LBB2_852
; %bb.849:                              ;   in Loop: Header=BB2_639 Depth=2
	v_bfe_u32 v22, v2, 16, 7
	v_cmp_ne_u32_e32 vcc, s62, v22
	v_mov_b32_e32 v11, 0x7f800001
	s_and_saveexec_b64 s[46:47], vcc
	s_cbranch_execz .LBB2_851
; %bb.850:                              ;   in Loop: Header=BB2_639 Depth=2
	v_and_b32_e32 v11, 7, v24
	v_ffbh_u32_e32 v31, v11
	v_min_u32_e32 v31, 32, v31
	v_subrev_u32_e32 v36, 28, v31
	v_lshlrev_b64 v[60:61], v36, v[24:25]
	v_lshrrev_b32_e32 v23, 3, v22
	v_sub_u32_e32 v31, 29, v31
	v_and_b32_e32 v36, 7, v60
	v_cmp_gt_u32_e32 vcc, 8, v22
	v_cndmask_b32_e32 v22, v23, v31, vcc
	v_cndmask_b32_e32 v11, v11, v36, vcc
	v_lshlrev_b32_e32 v23, 24, v24
	v_lshlrev_b32_e32 v11, 20, v11
	v_and_b32_e32 v23, 0x80000000, v23
	v_lshl_add_u32 v22, v22, 23, v47
	v_or3_b32 v11, v23, v22, v11
.LBB2_851:                              ;   in Loop: Header=BB2_639 Depth=2
	s_or_b64 exec, exec, s[46:47]
.LBB2_852:                              ;   in Loop: Header=BB2_639 Depth=2
	s_or_b64 exec, exec, s[44:45]
.LBB2_853:                              ;   in Loop: Header=BB2_639 Depth=2
	s_or_b64 exec, exec, s[16:17]
	v_cmp_ne_u16_sdwa vcc, v10, v43 src0_sel:BYTE_0 src1_sel:DWORD
	s_and_saveexec_b64 s[16:17], vcc
	s_cbranch_execz .LBB2_859
; %bb.854:                              ;   in Loop: Header=BB2_639 Depth=2
	v_cmp_ne_u16_sdwa vcc, v10, s61 src0_sel:BYTE_0 src1_sel:DWORD
	v_bfrev_b32_e32 v3, 1
	s_and_saveexec_b64 s[44:45], vcc
	s_cbranch_execz .LBB2_858
; %bb.855:                              ;   in Loop: Header=BB2_639 Depth=2
	v_and_b32_e32 v22, 0x7f, v10
	v_cmp_ne_u32_e32 vcc, s62, v22
	v_mov_b32_e32 v3, 0x7f800001
	s_and_saveexec_b64 s[46:47], vcc
	s_cbranch_execz .LBB2_857
; %bb.856:                              ;   in Loop: Header=BB2_639 Depth=2
	v_and_b32_e32 v3, 7, v10
	v_ffbh_u32_e32 v24, v3
	v_min_u32_e32 v24, 32, v24
	v_subrev_u32_e32 v31, 28, v24
	v_lshlrev_b64 v[60:61], v31, v[10:11]
	v_lshrrev_b32_e32 v23, 3, v22
	v_sub_u32_e32 v24, 29, v24
	v_and_b32_e32 v31, 7, v60
	v_cmp_gt_u32_e32 vcc, 8, v22
	v_cndmask_b32_e32 v22, v23, v24, vcc
	v_cndmask_b32_e32 v3, v3, v31, vcc
	v_lshlrev_b32_e32 v10, 24, v10
	v_lshlrev_b32_e32 v3, 20, v3
	v_and_b32_e32 v10, 0x80000000, v10
	v_lshl_add_u32 v22, v22, 23, v47
	v_or3_b32 v3, v10, v22, v3
.LBB2_857:                              ;   in Loop: Header=BB2_639 Depth=2
	s_or_b64 exec, exec, s[46:47]
.LBB2_858:                              ;   in Loop: Header=BB2_639 Depth=2
	s_or_b64 exec, exec, s[44:45]
.LBB2_859:                              ;   in Loop: Header=BB2_639 Depth=2
	s_or_b64 exec, exec, s[16:17]
	v_add_f32_e32 v10, v11, v3
	v_and_b32_sdwa v3, v10, s61 dst_sel:DWORD dst_unused:UNUSED_PAD src0_sel:BYTE_3 src1_sel:DWORD
	v_and_b32_e32 v22, 0x7f800000, v10
	v_mov_b32_e32 v23, v43
	v_and_b32_e32 v42, 0x7fffff, v10
	v_or_b32_e32 v11, 0x7e, v3
	v_cmp_ne_u64_e32 vcc, s[36:37], v[22:23]
	s_and_saveexec_b64 s[16:17], vcc
	s_xor_b64 s[44:45], exec, s[16:17]
	s_cbranch_execz .LBB2_869
; %bb.860:                              ;   in Loop: Header=BB2_639 Depth=2
	v_and_b32_e32 v22, 0x7fffffff, v10
	v_mov_b32_e32 v23, v43
	v_cmp_gt_u64_e32 vcc, s[38:39], v[22:23]
	s_and_saveexec_b64 s[46:47], vcc
	s_cbranch_execz .LBB2_868
; %bb.861:                              ;   in Loop: Header=BB2_639 Depth=2
	v_cmp_ne_u32_e32 vcc, 0, v10
	v_mov_b32_e32 v11, 0
	s_and_saveexec_b64 s[48:49], vcc
	s_cbranch_execz .LBB2_867
; %bb.862:                              ;   in Loop: Header=BB2_639 Depth=2
	v_bfe_u32 v10, v10, 23, 8
	v_sub_u32_e32 v22, 0x79, v10
	v_cmp_gt_u32_e32 vcc, s63, v10
	v_cndmask_b32_e32 v22, 0, v22, vcc
	v_cmp_eq_u32_e32 vcc, 0, v10
	v_or_b32_e32 v23, 0x800000, v42
	v_cndmask_b32_e32 v31, v22, v6, vcc
	v_add_u32_e32 v11, 0xffffff81, v10
	v_cndmask_b32_e32 v42, v23, v42, vcc
	v_add_u32_e32 v10, 20, v31
	v_cndmask_b32_e32 v24, v11, v30, vcc
	v_lshlrev_b64 v[10:11], v10, -1
	v_lshrrev_b64 v[60:61], v31, v[42:43]
	v_not_b32_e32 v11, v11
	v_not_b32_e32 v10, v10
	v_add_u32_e32 v22, 19, v31
	v_lshrrev_b32_e32 v36, 23, v60
	v_and_b32_e32 v11, 0, v11
	v_and_b32_e32 v10, v42, v10
	v_lshlrev_b64 v[22:23], v22, 1
	v_add3_u32 v49, v31, v24, v36
	v_bfe_u32 v24, v60, 20, 1
	v_add_u32_e32 v24, -1, v24
	v_cmp_eq_u64_e32 vcc, v[10:11], v[22:23]
	v_cndmask_b32_e32 v10, 0, v24, vcc
	v_add_u32_e32 v10, v10, v60
	v_and_b32_e32 v10, 0xfffff, v10
	v_add_co_u32_e32 v10, vcc, v10, v60
	v_add_u32_e32 v31, 6, v49
	v_addc_co_u32_e32 v11, vcc, 0, v61, vcc
	v_cmp_ne_u32_e32 vcc, 0, v31
                                        ; implicit-def: $vgpr24
	s_and_saveexec_b64 s[16:17], vcc
	s_xor_b64 s[16:17], exec, s[16:17]
; %bb.863:                              ;   in Loop: Header=BB2_639 Depth=2
	v_add_u32_e32 v22, 7, v49
	v_cmp_lt_u64_e32 vcc, s[40:41], v[10:11]
	v_cndmask_b32_e32 v24, v31, v22, vcc
	v_cndmask_b32_e64 v22, 0, 1, vcc
	v_lshrrev_b64 v[10:11], v22, v[10:11]
; %bb.864:                              ;   in Loop: Header=BB2_639 Depth=2
	s_andn2_saveexec_b64 s[16:17], s[16:17]
; %bb.865:                              ;   in Loop: Header=BB2_639 Depth=2
	v_bfe_u32 v24, v10, 23, 1
; %bb.866:                              ;   in Loop: Header=BB2_639 Depth=2
	s_or_b64 exec, exec, s[16:17]
	v_lshrrev_b64 v[10:11], 20, v[10:11]
	v_cmp_gt_i32_e32 vcc, 16, v24
	v_cndmask_b32_e32 v11, 0, v11, vcc
	v_cndmask_b32_e32 v10, 7, v10, vcc
	v_cmp_eq_u64_e64 s[16:17], 0, v[10:11]
	v_min_i32_e32 v11, 15, v24
	v_cmp_eq_u32_e32 vcc, 0, v24
	v_lshlrev_b32_e32 v11, 3, v11
	v_and_or_b32 v10, v10, 7, v11
	s_and_b64 s[16:17], vcc, s[16:17]
	v_cndmask_b32_e64 v10, v10, 0, s[16:17]
	v_or_b32_e32 v11, v10, v3
.LBB2_867:                              ;   in Loop: Header=BB2_639 Depth=2
	s_or_b64 exec, exec, s[48:49]
.LBB2_868:                              ;   in Loop: Header=BB2_639 Depth=2
	s_or_b64 exec, exec, s[46:47]
                                        ; implicit-def: $vgpr10
.LBB2_869:                              ;   in Loop: Header=BB2_639 Depth=2
	s_andn2_saveexec_b64 s[16:17], s[44:45]
; %bb.870:                              ;   in Loop: Header=BB2_639 Depth=2
	v_or_b32_sdwa v3, v10, s62 dst_sel:DWORD dst_unused:UNUSED_PAD src0_sel:BYTE_3 src1_sel:DWORD
	v_cmp_eq_u64_e32 vcc, 0, v[42:43]
	v_cndmask_b32_e32 v11, v3, v11, vcc
; %bb.871:                              ;   in Loop: Header=BB2_639 Depth=2
	s_or_b64 exec, exec, s[16:17]
	v_cmp_lt_u32_e32 vcc, s64, v2
	v_mov_b32_e32 v3, 0
	v_mov_b32_e32 v24, 0
	s_and_saveexec_b64 s[16:17], vcc
	s_cbranch_execz .LBB2_877
; %bb.872:                              ;   in Loop: Header=BB2_639 Depth=2
	v_lshrrev_b32_e32 v10, 24, v2
	v_cmp_ne_u32_e32 vcc, s61, v10
	v_bfrev_b32_e32 v24, 1
	s_and_saveexec_b64 s[44:45], vcc
	s_cbranch_execz .LBB2_876
; %bb.873:                              ;   in Loop: Header=BB2_639 Depth=2
	v_bfe_u32 v2, v2, 24, 7
	v_cmp_ne_u32_e32 vcc, s62, v2
	v_mov_b32_e32 v24, 0x7f800001
	s_and_saveexec_b64 s[46:47], vcc
	s_cbranch_execz .LBB2_875
; %bb.874:                              ;   in Loop: Header=BB2_639 Depth=2
	v_and_b32_e32 v24, 7, v10
	v_ffbh_u32_e32 v22, v24
	v_min_u32_e32 v36, 32, v22
	v_subrev_u32_e32 v22, 28, v36
	v_lshlrev_b64 v[22:23], v22, v[10:11]
	v_lshrrev_b32_e32 v31, 3, v2
	v_sub_u32_e32 v23, 29, v36
	v_and_b32_e32 v22, 7, v22
	v_cmp_gt_u32_e32 vcc, 8, v2
	v_cndmask_b32_e32 v2, v31, v23, vcc
	v_cndmask_b32_e32 v22, v24, v22, vcc
	v_lshlrev_b32_e32 v10, 24, v10
	v_lshlrev_b32_e32 v22, 20, v22
	v_and_b32_e32 v10, 0x80000000, v10
	v_lshl_add_u32 v2, v2, 23, v47
	v_or3_b32 v24, v10, v2, v22
.LBB2_875:                              ;   in Loop: Header=BB2_639 Depth=2
	s_or_b64 exec, exec, s[46:47]
.LBB2_876:                              ;   in Loop: Header=BB2_639 Depth=2
	s_or_b64 exec, exec, s[44:45]
.LBB2_877:                              ;   in Loop: Header=BB2_639 Depth=2
	s_or_b64 exec, exec, s[16:17]
	v_lshlrev_b32_e32 v2, 8, v21
	v_and_b32_e32 v2, 0xff00, v2
	v_cmp_ne_u32_e32 vcc, 0, v2
	s_and_saveexec_b64 s[16:17], vcc
	s_cbranch_execz .LBB2_883
; %bb.878:                              ;   in Loop: Header=BB2_639 Depth=2
	v_cmp_ne_u32_e32 vcc, s68, v2
	v_bfrev_b32_e32 v3, 1
	s_and_saveexec_b64 s[44:45], vcc
	s_cbranch_execz .LBB2_882
; %bb.879:                              ;   in Loop: Header=BB2_639 Depth=2
	v_bfe_u32 v10, v2, 8, 7
	v_cmp_ne_u32_e32 vcc, s62, v10
	v_mov_b32_e32 v3, 0x7f800001
	s_and_saveexec_b64 s[46:47], vcc
	s_cbranch_execz .LBB2_881
; %bb.880:                              ;   in Loop: Header=BB2_639 Depth=2
	v_lshrrev_b32_e32 v22, 8, v2
	v_and_b32_e32 v3, 7, v22
	v_ffbh_u32_e32 v23, v3
	v_min_u32_e32 v31, 32, v23
	v_subrev_u32_e32 v23, 28, v31
	v_lshlrev_b64 v[22:23], v23, v[22:23]
	v_lshrrev_b32_e32 v21, 3, v10
	v_sub_u32_e32 v23, 29, v31
	v_and_b32_e32 v22, 7, v22
	v_cmp_gt_u32_e32 vcc, 8, v10
	v_cndmask_b32_e32 v10, v21, v23, vcc
	v_cndmask_b32_e32 v3, v3, v22, vcc
	v_lshlrev_b32_e32 v2, 16, v2
	v_lshlrev_b32_e32 v3, 20, v3
	v_and_b32_e32 v2, 0x80000000, v2
	v_lshl_add_u32 v10, v10, 23, v47
	v_or3_b32 v3, v2, v10, v3
.LBB2_881:                              ;   in Loop: Header=BB2_639 Depth=2
	s_or_b64 exec, exec, s[46:47]
.LBB2_882:                              ;   in Loop: Header=BB2_639 Depth=2
	s_or_b64 exec, exec, s[44:45]
.LBB2_883:                              ;   in Loop: Header=BB2_639 Depth=2
	s_or_b64 exec, exec, s[16:17]
	v_add_f32_e32 v2, v24, v3
	v_and_b32_sdwa v21, v2, s61 dst_sel:DWORD dst_unused:UNUSED_PAD src0_sel:BYTE_3 src1_sel:DWORD
	v_and_b32_e32 v22, 0x7f800000, v2
	v_mov_b32_e32 v23, v43
	v_and_b32_e32 v42, 0x7fffff, v2
	v_or_b32_e32 v10, 0x7e, v21
	v_cmp_ne_u64_e32 vcc, s[36:37], v[22:23]
	s_and_saveexec_b64 s[16:17], vcc
	s_xor_b64 s[44:45], exec, s[16:17]
	s_cbranch_execz .LBB2_893
; %bb.884:                              ;   in Loop: Header=BB2_639 Depth=2
	v_and_b32_e32 v22, 0x7fffffff, v2
	v_mov_b32_e32 v23, v43
	v_cmp_gt_u64_e32 vcc, s[38:39], v[22:23]
	s_and_saveexec_b64 s[46:47], vcc
	s_cbranch_execz .LBB2_892
; %bb.885:                              ;   in Loop: Header=BB2_639 Depth=2
	v_cmp_ne_u32_e32 vcc, 0, v2
	v_mov_b32_e32 v10, 0
	s_and_saveexec_b64 s[48:49], vcc
	s_cbranch_execz .LBB2_891
; %bb.886:                              ;   in Loop: Header=BB2_639 Depth=2
	v_bfe_u32 v2, v2, 23, 8
	v_sub_u32_e32 v10, 0x79, v2
	v_cmp_gt_u32_e32 vcc, s63, v2
	v_cndmask_b32_e32 v10, 0, v10, vcc
	v_cmp_eq_u32_e32 vcc, 0, v2
	v_or_b32_e32 v22, 0x800000, v42
	v_cndmask_b32_e32 v10, v10, v6, vcc
	v_add_u32_e32 v3, 0xffffff81, v2
	v_cndmask_b32_e32 v42, v22, v42, vcc
	v_add_u32_e32 v2, 20, v10
	v_cndmask_b32_e32 v24, v3, v30, vcc
	v_lshlrev_b64 v[2:3], v2, -1
	v_lshrrev_b64 v[60:61], v10, v[42:43]
	v_not_b32_e32 v3, v3
	v_not_b32_e32 v2, v2
	v_add_u32_e32 v22, 19, v10
	v_lshrrev_b32_e32 v31, 23, v60
	v_and_b32_e32 v3, 0, v3
	v_and_b32_e32 v2, v42, v2
	v_lshlrev_b64 v[22:23], v22, 1
	v_add3_u32 v31, v10, v24, v31
	v_bfe_u32 v10, v60, 20, 1
	v_add_u32_e32 v10, -1, v10
	v_cmp_eq_u64_e32 vcc, v[2:3], v[22:23]
	v_cndmask_b32_e32 v2, 0, v10, vcc
	v_add_u32_e32 v2, v2, v60
	v_and_b32_e32 v2, 0xfffff, v2
	v_add_co_u32_e32 v2, vcc, v2, v60
	v_add_u32_e32 v24, 6, v31
	v_addc_co_u32_e32 v3, vcc, 0, v61, vcc
	v_cmp_ne_u32_e32 vcc, 0, v24
                                        ; implicit-def: $vgpr10
	s_and_saveexec_b64 s[16:17], vcc
	s_xor_b64 s[16:17], exec, s[16:17]
; %bb.887:                              ;   in Loop: Header=BB2_639 Depth=2
	v_cmp_lt_u64_e32 vcc, s[40:41], v[2:3]
	v_add_u32_e32 v10, 7, v31
	v_cndmask_b32_e64 v22, 0, 1, vcc
	v_cndmask_b32_e32 v10, v24, v10, vcc
	v_lshrrev_b64 v[2:3], v22, v[2:3]
; %bb.888:                              ;   in Loop: Header=BB2_639 Depth=2
	s_andn2_saveexec_b64 s[16:17], s[16:17]
; %bb.889:                              ;   in Loop: Header=BB2_639 Depth=2
	v_bfe_u32 v10, v2, 23, 1
; %bb.890:                              ;   in Loop: Header=BB2_639 Depth=2
	s_or_b64 exec, exec, s[16:17]
	v_lshrrev_b64 v[2:3], 20, v[2:3]
	v_cmp_gt_i32_e32 vcc, 16, v10
	v_cndmask_b32_e32 v3, 0, v3, vcc
	v_cndmask_b32_e32 v2, 7, v2, vcc
	v_cmp_eq_u64_e64 s[16:17], 0, v[2:3]
	v_min_i32_e32 v3, 15, v10
	v_cmp_eq_u32_e32 vcc, 0, v10
	v_lshlrev_b32_e32 v3, 3, v3
	v_and_or_b32 v2, v2, 7, v3
	s_and_b64 s[16:17], vcc, s[16:17]
	v_cndmask_b32_e64 v2, v2, 0, s[16:17]
	v_or_b32_e32 v10, v2, v21
.LBB2_891:                              ;   in Loop: Header=BB2_639 Depth=2
	s_or_b64 exec, exec, s[48:49]
.LBB2_892:                              ;   in Loop: Header=BB2_639 Depth=2
	s_or_b64 exec, exec, s[46:47]
                                        ; implicit-def: $vgpr2
.LBB2_893:                              ;   in Loop: Header=BB2_639 Depth=2
	s_andn2_saveexec_b64 s[16:17], s[44:45]
; %bb.894:                              ;   in Loop: Header=BB2_639 Depth=2
	v_or_b32_sdwa v2, v2, s62 dst_sel:DWORD dst_unused:UNUSED_PAD src0_sel:BYTE_3 src1_sel:DWORD
	v_cmp_eq_u64_e32 vcc, 0, v[42:43]
	v_cndmask_b32_e32 v10, v2, v10, vcc
; %bb.895:                              ;   in Loop: Header=BB2_639 Depth=2
	s_or_b64 exec, exec, s[16:17]
	v_cmp_ne_u16_sdwa vcc, v4, v43 src0_sel:BYTE_0 src1_sel:DWORD
	v_mov_b32_e32 v2, 0
	v_mov_b32_e32 v3, 0
	s_and_saveexec_b64 s[16:17], vcc
	s_cbranch_execz .LBB2_901
; %bb.896:                              ;   in Loop: Header=BB2_639 Depth=2
	v_cmp_ne_u16_sdwa vcc, v4, s61 src0_sel:BYTE_0 src1_sel:DWORD
	v_bfrev_b32_e32 v3, 1
	s_and_saveexec_b64 s[44:45], vcc
	s_cbranch_execz .LBB2_900
; %bb.897:                              ;   in Loop: Header=BB2_639 Depth=2
	v_and_b32_e32 v21, 0x7f, v4
	v_cmp_ne_u32_e32 vcc, s62, v21
	v_mov_b32_e32 v3, 0x7f800001
	s_and_saveexec_b64 s[46:47], vcc
	s_cbranch_execz .LBB2_899
; %bb.898:                              ;   in Loop: Header=BB2_639 Depth=2
	v_and_b32_e32 v3, 7, v4
	v_ffbh_u32_e32 v3, v3
	v_min_u32_e32 v3, 32, v3
	v_subrev_u32_e32 v23, 28, v3
	v_cmp_gt_u32_e32 vcc, 8, v21
	v_lshrrev_b32_e32 v22, 3, v21
	v_sub_u32_e32 v3, 29, v3
	v_cndmask_b32_e32 v21, 0, v23, vcc
	v_cndmask_b32_e32 v3, v22, v3, vcc
	v_lshlrev_b64 v[22:23], v21, v[4:5]
	v_lshlrev_b32_e32 v5, 20, v22
	v_lshlrev_b32_e32 v21, 24, v4
	v_and_b32_e32 v5, 0x700000, v5
	v_and_b32_e32 v21, 0x80000000, v21
	v_lshl_add_u32 v3, v3, 23, v47
	v_or3_b32 v3, v21, v3, v5
.LBB2_899:                              ;   in Loop: Header=BB2_639 Depth=2
	s_or_b64 exec, exec, s[46:47]
.LBB2_900:                              ;   in Loop: Header=BB2_639 Depth=2
	s_or_b64 exec, exec, s[44:45]
.LBB2_901:                              ;   in Loop: Header=BB2_639 Depth=2
	s_or_b64 exec, exec, s[16:17]
	v_lshlrev_b32_e32 v21, 8, v27
	v_lshlrev_b32_e32 v5, 24, v48
	v_perm_b32 v22, v33, v9, s69
	v_or3_b32 v42, v22, v5, v21
	v_cmp_ne_u16_sdwa vcc, v9, v43 src0_sel:BYTE_0 src1_sel:DWORD
	s_and_saveexec_b64 s[16:17], vcc
	s_cbranch_execz .LBB2_907
; %bb.902:                              ;   in Loop: Header=BB2_639 Depth=2
	v_cmp_ne_u16_sdwa vcc, v9, s61 src0_sel:BYTE_0 src1_sel:DWORD
	v_bfrev_b32_e32 v2, 1
	s_and_saveexec_b64 s[44:45], vcc
	s_cbranch_execz .LBB2_906
; %bb.903:                              ;   in Loop: Header=BB2_639 Depth=2
	v_and_b32_e32 v5, 0x7f, v9
	v_cmp_ne_u32_e32 vcc, s62, v5
	v_mov_b32_e32 v2, 0x7f800001
	s_and_saveexec_b64 s[46:47], vcc
	s_cbranch_execz .LBB2_905
; %bb.904:                              ;   in Loop: Header=BB2_639 Depth=2
	v_and_b32_e32 v2, 7, v9
	v_ffbh_u32_e32 v2, v2
	v_min_u32_e32 v2, 32, v2
	v_subrev_u32_e32 v22, 28, v2
	v_cmp_gt_u32_e32 vcc, 8, v5
	v_lshrrev_b32_e32 v9, 3, v5
	v_cndmask_b32_e32 v5, 0, v22, vcc
	v_sub_u32_e32 v2, 29, v2
	v_lshlrev_b64 v[22:23], v5, v[42:43]
	v_cndmask_b32_e32 v2, v9, v2, vcc
	v_lshlrev_b32_e32 v5, 20, v22
	v_lshlrev_b32_e32 v9, 24, v42
	v_and_b32_e32 v5, 0x700000, v5
	v_and_b32_e32 v9, 0x80000000, v9
	v_lshl_add_u32 v2, v2, 23, v47
	v_or3_b32 v2, v9, v2, v5
.LBB2_905:                              ;   in Loop: Header=BB2_639 Depth=2
	s_or_b64 exec, exec, s[46:47]
.LBB2_906:                              ;   in Loop: Header=BB2_639 Depth=2
	s_or_b64 exec, exec, s[44:45]
.LBB2_907:                              ;   in Loop: Header=BB2_639 Depth=2
	s_or_b64 exec, exec, s[16:17]
	v_add_f32_e32 v24, v3, v2
	v_and_b32_sdwa v9, v24, s61 dst_sel:DWORD dst_unused:UNUSED_PAD src0_sel:BYTE_3 src1_sel:DWORD
	v_and_b32_e32 v22, 0x7f800000, v24
	v_mov_b32_e32 v23, v43
	v_and_b32_e32 v2, 0x7fffff, v24
	v_mov_b32_e32 v3, v43
	v_or_b32_e32 v5, 0x7e, v9
	v_cmp_ne_u64_e32 vcc, s[36:37], v[22:23]
	s_and_saveexec_b64 s[16:17], vcc
	s_xor_b64 s[44:45], exec, s[16:17]
	s_cbranch_execz .LBB2_917
; %bb.908:                              ;   in Loop: Header=BB2_639 Depth=2
	v_and_b32_e32 v22, 0x7fffffff, v24
	v_mov_b32_e32 v23, v43
	v_cmp_gt_u64_e32 vcc, s[38:39], v[22:23]
	s_and_saveexec_b64 s[46:47], vcc
	s_cbranch_execz .LBB2_916
; %bb.909:                              ;   in Loop: Header=BB2_639 Depth=2
	v_cmp_ne_u32_e32 vcc, 0, v24
	v_mov_b32_e32 v5, 0
	s_and_saveexec_b64 s[48:49], vcc
	s_cbranch_execz .LBB2_915
; %bb.910:                              ;   in Loop: Header=BB2_639 Depth=2
	v_bfe_u32 v5, v24, 23, 8
	v_sub_u32_e32 v23, 0x79, v5
	v_cmp_gt_u32_e32 vcc, s63, v5
	v_cndmask_b32_e32 v23, 0, v23, vcc
	v_cmp_eq_u32_e32 vcc, 0, v5
	v_add_u32_e32 v22, 0xffffff81, v5
	v_cndmask_b32_e32 v27, v23, v6, vcc
	v_cndmask_b32_e32 v5, v22, v30, vcc
	v_add_u32_e32 v22, 20, v27
	v_or_b32_e32 v24, 0x800000, v2
	v_lshlrev_b64 v[22:23], v22, -1
	v_cndmask_b32_e32 v2, v24, v2, vcc
	v_not_b32_e32 v22, v22
	v_and_b32_e32 v22, v2, v22
	v_add_u32_e32 v24, 19, v27
	v_lshrrev_b64 v[2:3], v27, v[2:3]
	v_not_b32_e32 v23, v23
	v_lshlrev_b64 v[48:49], v24, 1
	v_lshrrev_b32_e32 v24, 23, v2
	v_and_b32_e32 v23, 0, v23
	v_add3_u32 v27, v27, v5, v24
	v_bfe_u32 v5, v2, 20, 1
	v_add_u32_e32 v5, -1, v5
	v_cmp_eq_u64_e32 vcc, v[22:23], v[48:49]
	v_cndmask_b32_e32 v5, 0, v5, vcc
	v_add_u32_e32 v5, v5, v2
	v_and_b32_e32 v5, 0xfffff, v5
	v_add_co_u32_e32 v2, vcc, v5, v2
	v_add_u32_e32 v24, 6, v27
	v_addc_co_u32_e32 v3, vcc, 0, v3, vcc
	v_cmp_ne_u32_e32 vcc, 0, v24
                                        ; implicit-def: $vgpr5
	s_and_saveexec_b64 s[16:17], vcc
	s_xor_b64 s[16:17], exec, s[16:17]
; %bb.911:                              ;   in Loop: Header=BB2_639 Depth=2
	v_cmp_lt_u64_e32 vcc, s[40:41], v[2:3]
	v_add_u32_e32 v5, 7, v27
	v_cndmask_b32_e64 v22, 0, 1, vcc
	v_cndmask_b32_e32 v5, v24, v5, vcc
	v_lshrrev_b64 v[2:3], v22, v[2:3]
; %bb.912:                              ;   in Loop: Header=BB2_639 Depth=2
	s_andn2_saveexec_b64 s[16:17], s[16:17]
; %bb.913:                              ;   in Loop: Header=BB2_639 Depth=2
	v_bfe_u32 v5, v2, 23, 1
; %bb.914:                              ;   in Loop: Header=BB2_639 Depth=2
	s_or_b64 exec, exec, s[16:17]
	v_lshrrev_b64 v[2:3], 20, v[2:3]
	v_cmp_gt_i32_e32 vcc, 16, v5
	v_cndmask_b32_e32 v3, 0, v3, vcc
	v_cndmask_b32_e32 v2, 7, v2, vcc
	v_cmp_eq_u64_e64 s[16:17], 0, v[2:3]
	v_min_i32_e32 v3, 15, v5
	v_cmp_eq_u32_e32 vcc, 0, v5
	v_lshlrev_b32_e32 v3, 3, v3
	v_and_or_b32 v2, v2, 7, v3
	s_and_b64 s[16:17], vcc, s[16:17]
	v_cndmask_b32_e64 v2, v2, 0, s[16:17]
	v_or_b32_e32 v5, v2, v9
.LBB2_915:                              ;   in Loop: Header=BB2_639 Depth=2
	s_or_b64 exec, exec, s[48:49]
.LBB2_916:                              ;   in Loop: Header=BB2_639 Depth=2
	s_or_b64 exec, exec, s[46:47]
                                        ; implicit-def: $vgpr24
                                        ; implicit-def: $vgpr2_vgpr3
.LBB2_917:                              ;   in Loop: Header=BB2_639 Depth=2
	s_andn2_saveexec_b64 s[16:17], s[44:45]
; %bb.918:                              ;   in Loop: Header=BB2_639 Depth=2
	v_or_b32_sdwa v9, v24, s62 dst_sel:DWORD dst_unused:UNUSED_PAD src0_sel:BYTE_3 src1_sel:DWORD
	v_cmp_eq_u64_e32 vcc, 0, v[2:3]
	v_cndmask_b32_e32 v5, v9, v5, vcc
; %bb.919:                              ;   in Loop: Header=BB2_639 Depth=2
	s_or_b64 exec, exec, s[16:17]
	v_lshrrev_b16_e32 v2, 8, v4
	v_cmp_ne_u16_e32 vcc, 0, v2
	v_mov_b32_e32 v3, 0
	v_mov_b32_e32 v9, 0
	s_and_saveexec_b64 s[16:17], vcc
	s_cbranch_execz .LBB2_925
; %bb.920:                              ;   in Loop: Header=BB2_639 Depth=2
	v_cmp_ne_u16_e32 vcc, s61, v2
	v_bfrev_b32_e32 v9, 1
	s_and_saveexec_b64 s[44:45], vcc
	s_cbranch_execz .LBB2_924
; %bb.921:                              ;   in Loop: Header=BB2_639 Depth=2
	v_and_b32_e32 v22, 0x7f, v2
	v_cmp_ne_u32_e32 vcc, s62, v22
	v_mov_b32_e32 v9, 0x7f800001
	s_and_saveexec_b64 s[46:47], vcc
	s_cbranch_execz .LBB2_923
; %bb.922:                              ;   in Loop: Header=BB2_639 Depth=2
	v_and_b32_e32 v9, 7, v2
	v_ffbh_u32_e32 v24, v9
	v_min_u32_e32 v24, 32, v24
	v_subrev_u32_e32 v27, 28, v24
	v_lshlrev_b64 v[48:49], v27, v[2:3]
	v_lshrrev_b32_e32 v23, 3, v22
	v_sub_u32_e32 v2, 29, v24
	v_and_b32_e32 v24, 7, v48
	v_cmp_gt_u32_e32 vcc, 8, v22
	v_cndmask_b32_e32 v2, v23, v2, vcc
	v_cndmask_b32_e32 v9, v9, v24, vcc
	v_lshlrev_b32_e32 v22, 16, v4
	v_lshlrev_b32_e32 v9, 20, v9
	v_and_b32_e32 v22, 0x80000000, v22
	v_lshl_add_u32 v2, v2, 23, v47
	v_or3_b32 v9, v22, v2, v9
.LBB2_923:                              ;   in Loop: Header=BB2_639 Depth=2
	s_or_b64 exec, exec, s[46:47]
.LBB2_924:                              ;   in Loop: Header=BB2_639 Depth=2
	s_or_b64 exec, exec, s[44:45]
.LBB2_925:                              ;   in Loop: Header=BB2_639 Depth=2
	s_or_b64 exec, exec, s[16:17]
	v_lshrrev_b16_e32 v2, 8, v21
	v_cmp_ne_u16_e32 vcc, 0, v2
	s_and_saveexec_b64 s[16:17], vcc
	s_cbranch_execz .LBB2_931
; %bb.926:                              ;   in Loop: Header=BB2_639 Depth=2
	v_cmp_ne_u16_e32 vcc, s61, v2
	v_bfrev_b32_e32 v3, 1
	s_and_saveexec_b64 s[44:45], vcc
	s_cbranch_execz .LBB2_930
; %bb.927:                              ;   in Loop: Header=BB2_639 Depth=2
	v_and_b32_e32 v22, 0x7f, v2
	v_cmp_ne_u32_e32 vcc, s62, v22
	v_mov_b32_e32 v3, 0x7f800001
	s_and_saveexec_b64 s[46:47], vcc
	s_cbranch_execz .LBB2_929
; %bb.928:                              ;   in Loop: Header=BB2_639 Depth=2
	v_and_b32_e32 v23, 7, v2
	v_ffbh_u32_e32 v3, v23
	v_min_u32_e32 v27, 32, v3
	v_subrev_u32_e32 v3, 28, v27
	v_lshlrev_b64 v[2:3], v3, v[2:3]
	v_lshrrev_b32_e32 v24, 3, v22
	v_sub_u32_e32 v3, 29, v27
	v_and_b32_e32 v2, 7, v2
	v_cmp_gt_u32_e32 vcc, 8, v22
	v_cndmask_b32_e32 v3, v24, v3, vcc
	v_cndmask_b32_e32 v2, v23, v2, vcc
	v_lshlrev_b32_e32 v21, 16, v21
	v_lshlrev_b32_e32 v2, 20, v2
	v_and_b32_e32 v21, 0x80000000, v21
	v_lshl_add_u32 v3, v3, 23, v47
	v_or3_b32 v3, v21, v3, v2
.LBB2_929:                              ;   in Loop: Header=BB2_639 Depth=2
	s_or_b64 exec, exec, s[46:47]
.LBB2_930:                              ;   in Loop: Header=BB2_639 Depth=2
	s_or_b64 exec, exec, s[44:45]
.LBB2_931:                              ;   in Loop: Header=BB2_639 Depth=2
	s_or_b64 exec, exec, s[16:17]
	v_add_f32_e32 v24, v9, v3
	v_and_b32_sdwa v21, v24, s61 dst_sel:DWORD dst_unused:UNUSED_PAD src0_sel:BYTE_3 src1_sel:DWORD
	v_and_b32_e32 v22, 0x7f800000, v24
	v_mov_b32_e32 v23, v43
	v_and_b32_e32 v2, 0x7fffff, v24
	v_mov_b32_e32 v3, v43
	v_or_b32_e32 v9, 0x7e, v21
	v_cmp_ne_u64_e32 vcc, s[36:37], v[22:23]
	s_and_saveexec_b64 s[16:17], vcc
	s_xor_b64 s[44:45], exec, s[16:17]
	s_cbranch_execz .LBB2_941
; %bb.932:                              ;   in Loop: Header=BB2_639 Depth=2
	v_and_b32_e32 v22, 0x7fffffff, v24
	v_mov_b32_e32 v23, v43
	v_cmp_gt_u64_e32 vcc, s[38:39], v[22:23]
	s_and_saveexec_b64 s[46:47], vcc
	s_cbranch_execz .LBB2_940
; %bb.933:                              ;   in Loop: Header=BB2_639 Depth=2
	v_cmp_ne_u32_e32 vcc, 0, v24
	v_mov_b32_e32 v9, 0
	s_and_saveexec_b64 s[48:49], vcc
	s_cbranch_execz .LBB2_939
; %bb.934:                              ;   in Loop: Header=BB2_639 Depth=2
	v_bfe_u32 v9, v24, 23, 8
	v_sub_u32_e32 v23, 0x79, v9
	v_cmp_gt_u32_e32 vcc, s63, v9
	v_cndmask_b32_e32 v23, 0, v23, vcc
	v_cmp_eq_u32_e32 vcc, 0, v9
	v_add_u32_e32 v22, 0xffffff81, v9
	v_cndmask_b32_e32 v27, v23, v6, vcc
	v_cndmask_b32_e32 v9, v22, v30, vcc
	v_add_u32_e32 v22, 20, v27
	v_or_b32_e32 v24, 0x800000, v2
	v_lshlrev_b64 v[22:23], v22, -1
	v_cndmask_b32_e32 v2, v24, v2, vcc
	v_not_b32_e32 v22, v22
	v_and_b32_e32 v22, v2, v22
	v_add_u32_e32 v24, 19, v27
	v_lshrrev_b64 v[2:3], v27, v[2:3]
	v_not_b32_e32 v23, v23
	v_lshlrev_b64 v[48:49], v24, 1
	v_lshrrev_b32_e32 v24, 23, v2
	v_and_b32_e32 v23, 0, v23
	v_add3_u32 v27, v27, v9, v24
	v_bfe_u32 v9, v2, 20, 1
	v_add_u32_e32 v9, -1, v9
	v_cmp_eq_u64_e32 vcc, v[22:23], v[48:49]
	v_cndmask_b32_e32 v9, 0, v9, vcc
	v_add_u32_e32 v9, v9, v2
	v_and_b32_e32 v9, 0xfffff, v9
	v_add_co_u32_e32 v2, vcc, v9, v2
	v_add_u32_e32 v24, 6, v27
	v_addc_co_u32_e32 v3, vcc, 0, v3, vcc
	v_cmp_ne_u32_e32 vcc, 0, v24
                                        ; implicit-def: $vgpr9
	s_and_saveexec_b64 s[16:17], vcc
	s_xor_b64 s[16:17], exec, s[16:17]
; %bb.935:                              ;   in Loop: Header=BB2_639 Depth=2
	v_cmp_lt_u64_e32 vcc, s[40:41], v[2:3]
	v_add_u32_e32 v9, 7, v27
	v_cndmask_b32_e64 v22, 0, 1, vcc
	v_cndmask_b32_e32 v9, v24, v9, vcc
	v_lshrrev_b64 v[2:3], v22, v[2:3]
; %bb.936:                              ;   in Loop: Header=BB2_639 Depth=2
	s_andn2_saveexec_b64 s[16:17], s[16:17]
; %bb.937:                              ;   in Loop: Header=BB2_639 Depth=2
	v_bfe_u32 v9, v2, 23, 1
; %bb.938:                              ;   in Loop: Header=BB2_639 Depth=2
	s_or_b64 exec, exec, s[16:17]
	v_lshrrev_b64 v[2:3], 20, v[2:3]
	v_cmp_gt_i32_e32 vcc, 16, v9
	v_cndmask_b32_e32 v3, 0, v3, vcc
	v_cndmask_b32_e32 v2, 7, v2, vcc
	v_cmp_eq_u64_e64 s[16:17], 0, v[2:3]
	v_min_i32_e32 v3, 15, v9
	v_cmp_eq_u32_e32 vcc, 0, v9
	v_lshlrev_b32_e32 v3, 3, v3
	v_and_or_b32 v2, v2, 7, v3
	s_and_b64 s[16:17], vcc, s[16:17]
	v_cndmask_b32_e64 v2, v2, 0, s[16:17]
	v_or_b32_e32 v9, v2, v21
.LBB2_939:                              ;   in Loop: Header=BB2_639 Depth=2
	s_or_b64 exec, exec, s[48:49]
.LBB2_940:                              ;   in Loop: Header=BB2_639 Depth=2
	s_or_b64 exec, exec, s[46:47]
                                        ; implicit-def: $vgpr24
                                        ; implicit-def: $vgpr2_vgpr3
.LBB2_941:                              ;   in Loop: Header=BB2_639 Depth=2
	s_andn2_saveexec_b64 s[16:17], s[44:45]
; %bb.942:                              ;   in Loop: Header=BB2_639 Depth=2
	v_or_b32_sdwa v21, v24, s62 dst_sel:DWORD dst_unused:UNUSED_PAD src0_sel:BYTE_3 src1_sel:DWORD
	v_cmp_eq_u64_e32 vcc, 0, v[2:3]
	v_cndmask_b32_e32 v9, v21, v9, vcc
; %bb.943:                              ;   in Loop: Header=BB2_639 Depth=2
	s_or_b64 exec, exec, s[16:17]
	v_lshrrev_b32_e32 v2, 16, v4
	v_cmp_ne_u16_sdwa vcc, v2, v43 src0_sel:BYTE_0 src1_sel:DWORD
	v_mov_b32_e32 v3, 0
	v_mov_b32_e32 v21, 0
	s_and_saveexec_b64 s[16:17], vcc
	s_cbranch_execz .LBB2_949
; %bb.944:                              ;   in Loop: Header=BB2_639 Depth=2
	v_cmp_ne_u16_sdwa vcc, v2, s61 src0_sel:BYTE_0 src1_sel:DWORD
	v_bfrev_b32_e32 v21, 1
	s_and_saveexec_b64 s[44:45], vcc
	s_cbranch_execz .LBB2_948
; %bb.945:                              ;   in Loop: Header=BB2_639 Depth=2
	v_bfe_u32 v22, v4, 16, 7
	v_cmp_ne_u32_e32 vcc, s62, v22
	v_mov_b32_e32 v21, 0x7f800001
	s_and_saveexec_b64 s[46:47], vcc
	s_cbranch_execz .LBB2_947
; %bb.946:                              ;   in Loop: Header=BB2_639 Depth=2
	v_and_b32_e32 v21, 7, v2
	v_ffbh_u32_e32 v24, v21
	v_min_u32_e32 v24, 32, v24
	v_subrev_u32_e32 v27, 28, v24
	v_lshlrev_b64 v[48:49], v27, v[2:3]
	v_lshrrev_b32_e32 v23, 3, v22
	v_sub_u32_e32 v24, 29, v24
	v_and_b32_e32 v27, 7, v48
	v_cmp_gt_u32_e32 vcc, 8, v22
	v_cndmask_b32_e32 v22, v23, v24, vcc
	v_cndmask_b32_e32 v21, v21, v27, vcc
	v_lshlrev_b32_e32 v2, 24, v2
	v_lshlrev_b32_e32 v21, 20, v21
	v_and_b32_e32 v2, 0x80000000, v2
	v_lshl_add_u32 v22, v22, 23, v47
	v_or3_b32 v21, v2, v22, v21
.LBB2_947:                              ;   in Loop: Header=BB2_639 Depth=2
	s_or_b64 exec, exec, s[46:47]
.LBB2_948:                              ;   in Loop: Header=BB2_639 Depth=2
	s_or_b64 exec, exec, s[44:45]
.LBB2_949:                              ;   in Loop: Header=BB2_639 Depth=2
	s_or_b64 exec, exec, s[16:17]
	v_lshrrev_b32_e32 v2, 16, v42
	v_cmp_ne_u16_sdwa vcc, v2, v43 src0_sel:BYTE_0 src1_sel:DWORD
	s_and_saveexec_b64 s[16:17], vcc
	s_cbranch_execz .LBB2_955
; %bb.950:                              ;   in Loop: Header=BB2_639 Depth=2
	v_cmp_ne_u16_sdwa vcc, v2, s61 src0_sel:BYTE_0 src1_sel:DWORD
	v_bfrev_b32_e32 v3, 1
	s_and_saveexec_b64 s[44:45], vcc
	s_cbranch_execz .LBB2_954
; %bb.951:                              ;   in Loop: Header=BB2_639 Depth=2
	v_bfe_u32 v22, v42, 16, 7
	v_cmp_ne_u32_e32 vcc, s62, v22
	v_mov_b32_e32 v3, 0x7f800001
	s_and_saveexec_b64 s[46:47], vcc
	s_cbranch_execz .LBB2_953
; %bb.952:                              ;   in Loop: Header=BB2_639 Depth=2
	v_and_b32_e32 v23, 7, v2
	v_ffbh_u32_e32 v3, v23
	v_min_u32_e32 v27, 32, v3
	v_subrev_u32_e32 v3, 28, v27
	v_lshlrev_b64 v[2:3], v3, v[2:3]
	v_lshrrev_b32_e32 v24, 3, v22
	v_sub_u32_e32 v3, 29, v27
	v_and_b32_e32 v2, 7, v2
	v_cmp_gt_u32_e32 vcc, 8, v22
	v_cndmask_b32_e32 v3, v24, v3, vcc
	v_cndmask_b32_e32 v2, v23, v2, vcc
	v_lshlrev_b32_e32 v22, 8, v42
	v_lshlrev_b32_e32 v2, 20, v2
	v_and_b32_e32 v22, 0x80000000, v22
	v_lshl_add_u32 v3, v3, 23, v47
	v_or3_b32 v3, v22, v3, v2
.LBB2_953:                              ;   in Loop: Header=BB2_639 Depth=2
	s_or_b64 exec, exec, s[46:47]
.LBB2_954:                              ;   in Loop: Header=BB2_639 Depth=2
	s_or_b64 exec, exec, s[44:45]
.LBB2_955:                              ;   in Loop: Header=BB2_639 Depth=2
	s_or_b64 exec, exec, s[16:17]
	v_add_f32_e32 v27, v21, v3
	v_and_b32_sdwa v24, v27, s61 dst_sel:DWORD dst_unused:UNUSED_PAD src0_sel:BYTE_3 src1_sel:DWORD
	v_and_b32_e32 v22, 0x7f800000, v27
	v_mov_b32_e32 v23, v43
	v_and_b32_e32 v2, 0x7fffff, v27
	v_mov_b32_e32 v3, v43
	v_or_b32_e32 v21, 0x7e, v24
	v_cmp_ne_u64_e32 vcc, s[36:37], v[22:23]
	s_and_saveexec_b64 s[16:17], vcc
	s_xor_b64 s[44:45], exec, s[16:17]
	s_cbranch_execz .LBB2_965
; %bb.956:                              ;   in Loop: Header=BB2_639 Depth=2
	v_and_b32_e32 v22, 0x7fffffff, v27
	v_mov_b32_e32 v23, v43
	v_cmp_gt_u64_e32 vcc, s[38:39], v[22:23]
	s_and_saveexec_b64 s[46:47], vcc
	s_cbranch_execz .LBB2_964
; %bb.957:                              ;   in Loop: Header=BB2_639 Depth=2
	v_cmp_ne_u32_e32 vcc, 0, v27
	v_mov_b32_e32 v21, 0
	s_and_saveexec_b64 s[48:49], vcc
	s_cbranch_execz .LBB2_963
; %bb.958:                              ;   in Loop: Header=BB2_639 Depth=2
	v_bfe_u32 v21, v27, 23, 8
	v_sub_u32_e32 v23, 0x79, v21
	v_cmp_gt_u32_e32 vcc, s63, v21
	v_cndmask_b32_e32 v23, 0, v23, vcc
	v_cmp_eq_u32_e32 vcc, 0, v21
	v_add_u32_e32 v22, 0xffffff81, v21
	v_cndmask_b32_e32 v31, v23, v6, vcc
	v_cndmask_b32_e32 v21, v22, v30, vcc
	v_add_u32_e32 v22, 20, v31
	v_or_b32_e32 v27, 0x800000, v2
	v_lshlrev_b64 v[22:23], v22, -1
	v_cndmask_b32_e32 v2, v27, v2, vcc
	v_not_b32_e32 v22, v22
	v_and_b32_e32 v22, v2, v22
	v_add_u32_e32 v27, 19, v31
	v_lshrrev_b64 v[2:3], v31, v[2:3]
	v_not_b32_e32 v23, v23
	v_lshlrev_b64 v[48:49], v27, 1
	v_lshrrev_b32_e32 v27, 23, v2
	v_and_b32_e32 v23, 0, v23
	v_add3_u32 v31, v31, v21, v27
	v_bfe_u32 v21, v2, 20, 1
	v_add_u32_e32 v21, -1, v21
	v_cmp_eq_u64_e32 vcc, v[22:23], v[48:49]
	v_cndmask_b32_e32 v21, 0, v21, vcc
	v_add_u32_e32 v21, v21, v2
	v_and_b32_e32 v21, 0xfffff, v21
	v_add_co_u32_e32 v2, vcc, v21, v2
	v_add_u32_e32 v27, 6, v31
	v_addc_co_u32_e32 v3, vcc, 0, v3, vcc
	v_cmp_ne_u32_e32 vcc, 0, v27
                                        ; implicit-def: $vgpr21
	s_and_saveexec_b64 s[16:17], vcc
	s_xor_b64 s[16:17], exec, s[16:17]
; %bb.959:                              ;   in Loop: Header=BB2_639 Depth=2
	v_cmp_lt_u64_e32 vcc, s[40:41], v[2:3]
	v_add_u32_e32 v21, 7, v31
	v_cndmask_b32_e64 v22, 0, 1, vcc
	v_cndmask_b32_e32 v21, v27, v21, vcc
	v_lshrrev_b64 v[2:3], v22, v[2:3]
; %bb.960:                              ;   in Loop: Header=BB2_639 Depth=2
	s_andn2_saveexec_b64 s[16:17], s[16:17]
; %bb.961:                              ;   in Loop: Header=BB2_639 Depth=2
	v_bfe_u32 v21, v2, 23, 1
; %bb.962:                              ;   in Loop: Header=BB2_639 Depth=2
	s_or_b64 exec, exec, s[16:17]
	v_lshrrev_b64 v[2:3], 20, v[2:3]
	v_cmp_gt_i32_e32 vcc, 16, v21
	v_cndmask_b32_e32 v3, 0, v3, vcc
	v_cndmask_b32_e32 v2, 7, v2, vcc
	v_cmp_eq_u64_e64 s[16:17], 0, v[2:3]
	v_min_i32_e32 v3, 15, v21
	v_lshlrev_b32_e32 v3, 3, v3
	v_cmp_eq_u32_e32 vcc, 0, v21
	v_and_b32_e32 v3, 0xf8, v3
	v_and_or_b32 v2, v2, 7, v3
	s_and_b64 s[16:17], vcc, s[16:17]
	v_cndmask_b32_e64 v2, v2, 0, s[16:17]
	v_or_b32_e32 v21, v2, v24
.LBB2_963:                              ;   in Loop: Header=BB2_639 Depth=2
	s_or_b64 exec, exec, s[48:49]
.LBB2_964:                              ;   in Loop: Header=BB2_639 Depth=2
	s_or_b64 exec, exec, s[46:47]
                                        ; implicit-def: $vgpr27
                                        ; implicit-def: $vgpr2_vgpr3
.LBB2_965:                              ;   in Loop: Header=BB2_639 Depth=2
	s_andn2_saveexec_b64 s[16:17], s[44:45]
; %bb.966:                              ;   in Loop: Header=BB2_639 Depth=2
	v_or_b32_sdwa v22, v27, s62 dst_sel:DWORD dst_unused:UNUSED_PAD src0_sel:BYTE_3 src1_sel:DWORD
	v_cmp_eq_u64_e32 vcc, 0, v[2:3]
	v_cndmask_b32_e32 v21, v22, v21, vcc
; %bb.967:                              ;   in Loop: Header=BB2_639 Depth=2
	s_or_b64 exec, exec, s[16:17]
	v_and_b32_e32 v2, 0xff000000, v4
	v_mov_b32_e32 v3, v43
	v_cmp_ne_u64_e32 vcc, 0, v[2:3]
	v_mov_b32_e32 v3, 0
	v_mov_b32_e32 v24, 0
	s_and_saveexec_b64 s[16:17], vcc
	s_cbranch_execz .LBB2_973
; %bb.968:                              ;   in Loop: Header=BB2_639 Depth=2
	v_lshrrev_b32_e32 v2, 24, v4
	v_cmp_ne_u32_e32 vcc, s61, v2
	v_bfrev_b32_e32 v24, 1
	s_and_saveexec_b64 s[44:45], vcc
	s_cbranch_execz .LBB2_972
; %bb.969:                              ;   in Loop: Header=BB2_639 Depth=2
	v_bfe_u32 v4, v4, 24, 7
	v_cmp_ne_u32_e32 vcc, s62, v4
	v_mov_b32_e32 v24, 0x7f800001
	s_and_saveexec_b64 s[46:47], vcc
	s_cbranch_execz .LBB2_971
; %bb.970:                              ;   in Loop: Header=BB2_639 Depth=2
	v_and_b32_e32 v24, 7, v2
	v_ffbh_u32_e32 v22, v24
	v_min_u32_e32 v31, 32, v22
	v_subrev_u32_e32 v22, 28, v31
	v_lshlrev_b64 v[22:23], v22, v[2:3]
	v_lshrrev_b32_e32 v27, 3, v4
	v_sub_u32_e32 v23, 29, v31
	v_and_b32_e32 v22, 7, v22
	v_cmp_gt_u32_e32 vcc, 8, v4
	v_cndmask_b32_e32 v4, v27, v23, vcc
	v_cndmask_b32_e32 v22, v24, v22, vcc
	v_lshlrev_b32_e32 v2, 24, v2
	v_lshlrev_b32_e32 v22, 20, v22
	v_and_b32_e32 v2, 0x80000000, v2
	v_lshl_add_u32 v4, v4, 23, v47
	v_or3_b32 v24, v2, v4, v22
.LBB2_971:                              ;   in Loop: Header=BB2_639 Depth=2
	s_or_b64 exec, exec, s[46:47]
.LBB2_972:                              ;   in Loop: Header=BB2_639 Depth=2
	s_or_b64 exec, exec, s[44:45]
.LBB2_973:                              ;   in Loop: Header=BB2_639 Depth=2
	s_or_b64 exec, exec, s[16:17]
	v_cmp_lt_u32_e32 vcc, s64, v42
	s_and_saveexec_b64 s[16:17], vcc
	s_cbranch_execz .LBB2_979
; %bb.974:                              ;   in Loop: Header=BB2_639 Depth=2
	v_lshrrev_b32_e32 v2, 24, v42
	v_cmp_ne_u32_sdwa vcc, v42, s61 src0_sel:BYTE_3 src1_sel:DWORD
	v_bfrev_b32_e32 v3, 1
	s_and_saveexec_b64 s[44:45], vcc
	s_cbranch_execz .LBB2_978
; %bb.975:                              ;   in Loop: Header=BB2_639 Depth=2
	v_bfe_u32 v4, v42, 24, 7
	v_cmp_ne_u32_e32 vcc, s62, v4
	v_mov_b32_e32 v3, 0x7f800001
	s_and_saveexec_b64 s[46:47], vcc
	s_cbranch_execz .LBB2_977
; %bb.976:                              ;   in Loop: Header=BB2_639 Depth=2
	v_and_b32_e32 v22, 7, v2
	v_ffbh_u32_e32 v3, v22
	v_min_u32_e32 v27, 32, v3
	v_subrev_u32_e32 v3, 28, v27
	v_lshlrev_b64 v[2:3], v3, v[2:3]
	v_lshrrev_b32_e32 v23, 3, v4
	v_sub_u32_e32 v3, 29, v27
	v_and_b32_e32 v2, 7, v2
	v_cmp_gt_u32_e32 vcc, 8, v4
	v_cndmask_b32_e32 v3, v23, v3, vcc
	v_cndmask_b32_e32 v2, v22, v2, vcc
	v_lshlrev_b32_sdwa v4, v7, v42 dst_sel:DWORD dst_unused:UNUSED_PAD src0_sel:DWORD src1_sel:BYTE_3
	v_lshlrev_b32_e32 v2, 20, v2
	v_and_b32_e32 v4, 0x80000000, v4
	v_lshl_add_u32 v3, v3, 23, v47
	v_or3_b32 v3, v4, v3, v2
.LBB2_977:                              ;   in Loop: Header=BB2_639 Depth=2
	s_or_b64 exec, exec, s[46:47]
.LBB2_978:                              ;   in Loop: Header=BB2_639 Depth=2
	s_or_b64 exec, exec, s[44:45]
.LBB2_979:                              ;   in Loop: Header=BB2_639 Depth=2
	s_or_b64 exec, exec, s[16:17]
	v_add_f32_e32 v3, v24, v3
	v_and_b32_sdwa v4, v3, s61 dst_sel:DWORD dst_unused:UNUSED_PAD src0_sel:BYTE_3 src1_sel:DWORD
	v_and_b32_e32 v22, 0x7f800000, v3
	v_mov_b32_e32 v23, v43
	v_and_b32_e32 v42, 0x7fffff, v3
	v_or_b32_e32 v2, 0x7e, v4
	v_cmp_ne_u64_e32 vcc, s[36:37], v[22:23]
	s_and_saveexec_b64 s[16:17], vcc
	s_xor_b64 s[44:45], exec, s[16:17]
	s_cbranch_execz .LBB2_989
; %bb.980:                              ;   in Loop: Header=BB2_639 Depth=2
	v_and_b32_e32 v22, 0x7fffffff, v3
	v_mov_b32_e32 v23, v43
	v_cmp_gt_u64_e32 vcc, s[38:39], v[22:23]
	s_and_saveexec_b64 s[46:47], vcc
	s_cbranch_execz .LBB2_988
; %bb.981:                              ;   in Loop: Header=BB2_639 Depth=2
	v_cmp_ne_u32_e32 vcc, 0, v3
	v_mov_b32_e32 v2, 0
	s_and_saveexec_b64 s[48:49], vcc
	s_cbranch_execz .LBB2_987
; %bb.982:                              ;   in Loop: Header=BB2_639 Depth=2
	v_bfe_u32 v2, v3, 23, 8
	v_sub_u32_e32 v22, 0x79, v2
	v_cmp_gt_u32_e32 vcc, s63, v2
	v_cndmask_b32_e32 v22, 0, v22, vcc
	v_cmp_eq_u32_e32 vcc, 0, v2
	v_or_b32_e32 v23, 0x800000, v42
	v_cndmask_b32_e32 v27, v22, v6, vcc
	v_add_u32_e32 v3, 0xffffff81, v2
	v_cndmask_b32_e32 v42, v23, v42, vcc
	v_add_u32_e32 v2, 20, v27
	v_cndmask_b32_e32 v24, v3, v30, vcc
	v_lshlrev_b64 v[2:3], v2, -1
	v_lshrrev_b64 v[48:49], v27, v[42:43]
	v_not_b32_e32 v3, v3
	v_not_b32_e32 v2, v2
	v_add_u32_e32 v22, 19, v27
	v_lshrrev_b32_e32 v31, 23, v48
	v_and_b32_e32 v3, 0, v3
	v_and_b32_e32 v2, v42, v2
	v_lshlrev_b64 v[22:23], v22, 1
	v_add3_u32 v31, v27, v24, v31
	v_bfe_u32 v24, v48, 20, 1
	v_add_u32_e32 v24, -1, v24
	v_cmp_eq_u64_e32 vcc, v[2:3], v[22:23]
	v_cndmask_b32_e32 v2, 0, v24, vcc
	v_add_u32_e32 v2, v2, v48
	v_and_b32_e32 v2, 0xfffff, v2
	v_add_co_u32_e32 v2, vcc, v2, v48
	v_add_u32_e32 v27, 6, v31
	v_addc_co_u32_e32 v3, vcc, 0, v49, vcc
	v_cmp_ne_u32_e32 vcc, 0, v27
                                        ; implicit-def: $vgpr24
	s_and_saveexec_b64 s[16:17], vcc
	s_xor_b64 s[16:17], exec, s[16:17]
; %bb.983:                              ;   in Loop: Header=BB2_639 Depth=2
	v_add_u32_e32 v22, 7, v31
	v_cmp_lt_u64_e32 vcc, s[40:41], v[2:3]
	v_cndmask_b32_e32 v24, v27, v22, vcc
	v_cndmask_b32_e64 v22, 0, 1, vcc
	v_lshrrev_b64 v[2:3], v22, v[2:3]
; %bb.984:                              ;   in Loop: Header=BB2_639 Depth=2
	s_andn2_saveexec_b64 s[16:17], s[16:17]
; %bb.985:                              ;   in Loop: Header=BB2_639 Depth=2
	v_bfe_u32 v24, v2, 23, 1
; %bb.986:                              ;   in Loop: Header=BB2_639 Depth=2
	s_or_b64 exec, exec, s[16:17]
	v_lshrrev_b64 v[2:3], 20, v[2:3]
	v_cmp_gt_i32_e32 vcc, 16, v24
	v_cndmask_b32_e32 v3, 0, v3, vcc
	v_cndmask_b32_e32 v2, 7, v2, vcc
	v_cmp_eq_u64_e64 s[16:17], 0, v[2:3]
	v_min_i32_e32 v3, 15, v24
	v_lshlrev_b32_e32 v3, 3, v3
	v_cmp_eq_u32_e32 vcc, 0, v24
	v_and_b32_e32 v3, 0xf8, v3
	v_and_or_b32 v2, v2, 7, v3
	s_and_b64 s[16:17], vcc, s[16:17]
	v_cndmask_b32_e64 v2, v2, 0, s[16:17]
	v_or_b32_e32 v2, v2, v4
.LBB2_987:                              ;   in Loop: Header=BB2_639 Depth=2
	s_or_b64 exec, exec, s[48:49]
.LBB2_988:                              ;   in Loop: Header=BB2_639 Depth=2
	s_or_b64 exec, exec, s[46:47]
                                        ; implicit-def: $vgpr3
.LBB2_989:                              ;   in Loop: Header=BB2_639 Depth=2
	s_andn2_saveexec_b64 s[16:17], s[44:45]
; %bb.990:                              ;   in Loop: Header=BB2_639 Depth=2
	v_or_b32_sdwa v3, v3, s62 dst_sel:DWORD dst_unused:UNUSED_PAD src0_sel:BYTE_3 src1_sel:DWORD
	v_cmp_eq_u64_e32 vcc, 0, v[42:43]
	v_cndmask_b32_e32 v2, v3, v2, vcc
; %bb.991:                              ;   in Loop: Header=BB2_639 Depth=2
	s_or_b64 exec, exec, s[16:17]
	v_lshlrev_b32_e32 v3, 8, v9
	v_lshlrev_b32_e32 v2, 24, v2
	;; [unrolled: 1-line block ×3, first 2 shown]
	v_perm_b32 v3, v3, v5, s65
	v_cmp_lt_u32_e32 vcc, 7, v32
	v_or3_b32 v3, v2, v3, v4
	v_cndmask_b32_e64 v2, 0, 1, vcc
	;;#ASMSTART
	;;#ASMEND
	v_cmp_ne_u32_e64 s[16:17], 0, v2
	s_cmp_lg_u64 s[16:17], exec
	s_mov_b64 s[16:17], -1
	s_cbranch_scc0 .LBB2_1001
; %bb.992:                              ;   in Loop: Header=BB2_639 Depth=2
	v_cmp_ne_u32_e64 s[16:17], 1, v32
	flat_store_byte v[0:1], v8
	s_and_saveexec_b64 s[44:45], s[16:17]
	s_cbranch_execnz .LBB2_1003
; %bb.993:                              ;   in Loop: Header=BB2_639 Depth=2
	s_or_b64 exec, exec, s[44:45]
	v_cmp_lt_u32_e64 s[16:17], 2, v32
	s_and_saveexec_b64 s[44:45], s[16:17]
	s_cbranch_execnz .LBB2_1004
.LBB2_994:                              ;   in Loop: Header=BB2_639 Depth=2
	s_or_b64 exec, exec, s[44:45]
	v_cmp_lt_u32_e64 s[16:17], 3, v32
	s_and_saveexec_b64 s[44:45], s[16:17]
	s_cbranch_execnz .LBB2_1005
.LBB2_995:                              ;   in Loop: Header=BB2_639 Depth=2
	s_or_b64 exec, exec, s[44:45]
	v_cmp_lt_u32_e64 s[16:17], 4, v32
	s_and_saveexec_b64 s[44:45], s[16:17]
	s_cbranch_execnz .LBB2_1006
.LBB2_996:                              ;   in Loop: Header=BB2_639 Depth=2
	s_or_b64 exec, exec, s[44:45]
	v_cmp_lt_u32_e64 s[16:17], 5, v32
	s_and_saveexec_b64 s[44:45], s[16:17]
	s_cbranch_execnz .LBB2_1007
.LBB2_997:                              ;   in Loop: Header=BB2_639 Depth=2
	s_or_b64 exec, exec, s[44:45]
	v_cmp_lt_u32_e64 s[16:17], 6, v32
	s_and_saveexec_b64 s[44:45], s[16:17]
	s_cbranch_execnz .LBB2_1008
.LBB2_998:                              ;   in Loop: Header=BB2_639 Depth=2
	s_or_b64 exec, exec, s[44:45]
	s_and_saveexec_b64 s[16:17], vcc
	s_cbranch_execz .LBB2_1000
.LBB2_999:                              ;   in Loop: Header=BB2_639 Depth=2
	v_lshrrev_b32_e32 v2, 24, v3
	flat_store_byte v[0:1], v2 offset:7
.LBB2_1000:                             ;   in Loop: Header=BB2_639 Depth=2
	s_or_b64 exec, exec, s[16:17]
	s_mov_b64 s[16:17], 0
.LBB2_1001:                             ;   in Loop: Header=BB2_639 Depth=2
	s_and_b64 vcc, exec, s[16:17]
	s_cbranch_vccz .LBB2_638
; %bb.1002:                             ;   in Loop: Header=BB2_639 Depth=2
	v_perm_b32 v4, v10, v11, s66
	v_lshlrev_b32_e32 v2, 8, v25
	v_perm_b32 v4, v4, v8, s69
	v_and_or_b32 v2, v2, s67, v4
	global_store_dwordx2 v[0:1], v[2:3], off
	s_branch .LBB2_638
.LBB2_1003:                             ;   in Loop: Header=BB2_639 Depth=2
	flat_store_byte v[0:1], v25 offset:1
	s_or_b64 exec, exec, s[44:45]
	v_cmp_lt_u32_e64 s[16:17], 2, v32
	s_and_saveexec_b64 s[44:45], s[16:17]
	s_cbranch_execz .LBB2_994
.LBB2_1004:                             ;   in Loop: Header=BB2_639 Depth=2
	flat_store_byte v[0:1], v11 offset:2
	s_or_b64 exec, exec, s[44:45]
	v_cmp_lt_u32_e64 s[16:17], 3, v32
	s_and_saveexec_b64 s[44:45], s[16:17]
	s_cbranch_execz .LBB2_995
.LBB2_1005:                             ;   in Loop: Header=BB2_639 Depth=2
	flat_store_byte v[0:1], v10 offset:3
	s_or_b64 exec, exec, s[44:45]
	v_cmp_lt_u32_e64 s[16:17], 4, v32
	s_and_saveexec_b64 s[44:45], s[16:17]
	s_cbranch_execz .LBB2_996
.LBB2_1006:                             ;   in Loop: Header=BB2_639 Depth=2
	flat_store_byte v[0:1], v5 offset:4
	s_or_b64 exec, exec, s[44:45]
	v_cmp_lt_u32_e64 s[16:17], 5, v32
	s_and_saveexec_b64 s[44:45], s[16:17]
	s_cbranch_execz .LBB2_997
.LBB2_1007:                             ;   in Loop: Header=BB2_639 Depth=2
	flat_store_byte v[0:1], v9 offset:5
	s_or_b64 exec, exec, s[44:45]
	v_cmp_lt_u32_e64 s[16:17], 6, v32
	s_and_saveexec_b64 s[44:45], s[16:17]
	s_cbranch_execz .LBB2_998
.LBB2_1008:                             ;   in Loop: Header=BB2_639 Depth=2
	flat_store_byte v[0:1], v21 offset:6
	s_or_b64 exec, exec, s[44:45]
	s_and_saveexec_b64 s[16:17], vcc
	s_cbranch_execnz .LBB2_999
	s_branch .LBB2_1000
.LBB2_1009:                             ;   in Loop: Header=BB2_27 Depth=1
	s_or_b64 exec, exec, s[42:43]
	v_accvgpr_read_b32 v2, a10
	v_accvgpr_read_b32 v8, a44
	;; [unrolled: 1-line block ×5, first 2 shown]
.LBB2_1010:                             ;   in Loop: Header=BB2_27 Depth=1
	s_or_b64 exec, exec, s[18:19]
	s_and_saveexec_b64 s[16:17], s[10:11]
	s_cbranch_execnz .LBB2_1012
; %bb.1011:                             ;   in Loop: Header=BB2_27 Depth=1
	s_or_b64 exec, exec, s[16:17]
	s_and_saveexec_b64 s[16:17], s[14:15]
	s_cbranch_execz .LBB2_26
	s_branch .LBB2_1030
.LBB2_1012:                             ;   in Loop: Header=BB2_27 Depth=1
	s_and_saveexec_b64 s[18:19], s[28:29]
	s_xor_b64 s[18:19], exec, s[18:19]
	s_cbranch_execz .LBB2_1027
; %bb.1013:                             ;   in Loop: Header=BB2_27 Depth=1
	s_and_saveexec_b64 s[42:43], s[12:13]
	s_cbranch_execz .LBB2_1026
; %bb.1014:                             ;   in Loop: Header=BB2_27 Depth=1
	s_mov_b64 s[46:47], exec
	v_mbcnt_lo_u32_b32 v0, s46, 0
	v_mbcnt_hi_u32_b32 v0, s47, v0
	v_cmp_eq_u32_e32 vcc, 0, v0
	s_waitcnt vmcnt(0) lgkmcnt(0)
	buffer_wbinvl1_vol
	s_and_saveexec_b64 s[44:45], vcc
	s_cbranch_execz .LBB2_1016
; %bb.1015:                             ;   in Loop: Header=BB2_27 Depth=1
	s_bcnt1_i32_b64 vcc_lo, s[46:47]
	v_mov_b32_e32 v42, vcc_lo
	ds_add_u64 v0, v[42:43]
	s_trap 2
.LBB2_1016:                             ;   in Loop: Header=BB2_27 Depth=1
	s_or_b64 exec, exec, s[44:45]
	s_trap 2
	ds_read_b64 v[0:1], v0
	v_accvgpr_read_b32 v4, a32
	v_add_co_u32_e32 v54, vcc, v54, v4
	v_accvgpr_read_b32 v5, a29
	v_addc_co_u32_e32 v55, vcc, v55, v5, vcc
	s_waitcnt lgkmcnt(0)
	v_cmp_lt_u64_e32 vcc, v[0:1], v[54:55]
	s_and_saveexec_b64 s[44:45], vcc
	s_cbranch_execz .LBB2_1025
; %bb.1017:                             ;   in Loop: Header=BB2_27 Depth=1
	s_mov_b32 s56, 0
	s_mov_b64 s[46:47], 0
                                        ; implicit-def: $sgpr48_sgpr49
                                        ; implicit-def: $sgpr50_sgpr51
	s_branch .LBB2_1019
.LBB2_1018:                             ;   in Loop: Header=BB2_1019 Depth=2
	s_or_b64 exec, exec, s[54:55]
	s_and_b64 vcc, exec, vcc
	s_or_b64 s[46:47], vcc, s[46:47]
	s_andn2_b64 vcc, s[48:49], exec
	s_and_b64 s[48:49], s[50:51], exec
	s_or_b64 s[48:49], vcc, s[48:49]
	s_andn2_b64 exec, exec, s[46:47]
	s_cbranch_execz .LBB2_1023
.LBB2_1019:                             ;   Parent Loop BB2_27 Depth=1
                                        ; =>  This Inner Loop Header: Depth=2
	s_add_i32 s56, s56, 1
	s_cmpk_lg_i32 s56, 0x2710
	s_cselect_b64 s[52:53], -1, 0
	s_and_b64 vcc, exec, s[52:53]
                                        ; implicit-def: $sgpr54_sgpr55
	s_cbranch_vccnz .LBB2_1021
; %bb.1020:                             ;   in Loop: Header=BB2_1019 Depth=2
	s_trap 2
	ds_read_b64 v[0:1], v0
	s_andn2_b64 s[52:53], s[52:53], exec
	s_mov_b32 s56, 0
	s_mov_b64 s[54:55], -1
	s_waitcnt lgkmcnt(0)
	flat_load_dword v0, v[0:1] glc
	s_waitcnt vmcnt(0) lgkmcnt(0)
	buffer_invl2
	buffer_wbinvl1_vol
	v_cmp_eq_u32_e32 vcc, 0, v0
	s_and_b64 vcc, vcc, exec
	s_or_b64 s[52:53], s[52:53], vcc
.LBB2_1021:                             ;   in Loop: Header=BB2_1019 Depth=2
	s_andn2_b64 s[50:51], s[50:51], exec
	s_and_b64 s[54:55], s[54:55], exec
	s_mov_b64 vcc, -1
	s_or_b64 s[50:51], s[50:51], s[54:55]
	s_and_saveexec_b64 s[54:55], s[52:53]
	s_cbranch_execz .LBB2_1018
; %bb.1022:                             ;   in Loop: Header=BB2_1019 Depth=2
	s_sleep 1
	s_trap 2
	ds_read_b64 v[0:1], v0
	s_andn2_b64 s[50:51], s[50:51], exec
	s_waitcnt lgkmcnt(0)
	v_cmp_ge_u64_e32 vcc, v[0:1], v[54:55]
	s_orn2_b64 vcc, vcc, exec
	s_branch .LBB2_1018
.LBB2_1023:                             ;   in Loop: Header=BB2_27 Depth=1
	s_or_b64 exec, exec, s[46:47]
	s_and_saveexec_b64 vcc, s[48:49]
	s_xor_b64 vcc, exec, vcc
	s_cbranch_execz .LBB2_1025
; %bb.1024:                             ;   in Loop: Header=BB2_27 Depth=1
	v_mov_b32_e32 v0, 1
	ds_write_b32 v0, v0
	s_trap 2
.LBB2_1025:                             ;   in Loop: Header=BB2_27 Depth=1
	s_or_b64 exec, exec, s[44:45]
	;;#ASMSTART
	s_wakeup
	;;#ASMEND
.LBB2_1026:                             ;   in Loop: Header=BB2_27 Depth=1
	s_or_b64 exec, exec, s[42:43]
.LBB2_1027:                             ;   in Loop: Header=BB2_27 Depth=1
	s_andn2_saveexec_b64 s[18:19], s[18:19]
	s_cbranch_execz .LBB2_1029
; %bb.1028:                             ;   in Loop: Header=BB2_27 Depth=1
	s_waitcnt vmcnt(0) lgkmcnt(0)
	buffer_wbinvl1_vol
	s_barrier
.LBB2_1029:                             ;   in Loop: Header=BB2_27 Depth=1
	s_or_b64 exec, exec, s[18:19]
	s_or_b64 exec, exec, s[16:17]
	s_and_saveexec_b64 s[16:17], s[14:15]
	s_cbranch_execz .LBB2_26
.LBB2_1030:                             ;   in Loop: Header=BB2_27 Depth=1
	v_accvgpr_read_b32 v0, a22
	v_accvgpr_read_b32 v1, a23
	v_add_co_u32_e32 v0, vcc, 1, v0
	v_accvgpr_read_b32 v2, a24
	v_addc_co_u32_e32 v1, vcc, 0, v1, vcc
	v_accvgpr_read_b32 v3, a25
	v_accvgpr_write_b32 a23, v1
	flat_store_dwordx2 v[2:3], v[0:1]
	v_accvgpr_read_b32 v2, a10
	v_accvgpr_write_b32 a22, v0
	v_accvgpr_read_b32 v3, a11
	s_branch .LBB2_26
.LBB2_1031:
	s_or_b64 exec, exec, s[26:27]
	v_accvgpr_read_b32 v27, a15
	v_accvgpr_read_b32 v29, a17
	;; [unrolled: 1-line block ×6, first 2 shown]
.LBB2_1032:
	s_or_b64 exec, exec, s[24:25]
; %bb.1033:
	s_and_saveexec_b64 s[6:7], s[22:23]
	s_cbranch_execnz .LBB2_1036
; %bb.1034:
	s_or_b64 exec, exec, s[6:7]
	s_and_saveexec_b64 s[6:7], s[4:5]
	s_cbranch_execnz .LBB2_1037
.LBB2_1035:
	s_or_b64 exec, exec, s[6:7]
	v_cmp_ne_u32_e32 vcc, 64, v20
	s_and_saveexec_b64 s[4:5], vcc
	s_cbranch_execnz .LBB2_1038
	s_branch .LBB2_1055
.LBB2_1036:
	s_waitcnt vmcnt(0) lgkmcnt(0)
	flat_store_dwordx2 v[28:29], a[22:23] offset:104
	s_or_b64 exec, exec, s[6:7]
	s_and_saveexec_b64 s[6:7], s[4:5]
	s_cbranch_execz .LBB2_1035
.LBB2_1037:
	s_waitcnt vmcnt(0) lgkmcnt(0)
	flat_store_dwordx2 v[26:27], v[14:15] offset:104
	s_or_b64 exec, exec, s[6:7]
	v_cmp_ne_u32_e32 vcc, 64, v20
	s_and_saveexec_b64 s[4:5], vcc
	s_cbranch_execz .LBB2_1055
.LBB2_1038:
	s_waitcnt vmcnt(0)
	v_cmp_ne_u32_sdwa s[6:7], v9, v20 src0_sel:WORD_0 src1_sel:DWORD
	s_and_saveexec_b64 s[8:9], s[6:7]
	s_xor_b64 s[6:7], exec, s[8:9]
	s_cbranch_execz .LBB2_1053
; %bb.1039:
	v_and_b32_e32 v0, 63, v31
	v_cmp_eq_u32_e32 vcc, 0, v0
	s_and_saveexec_b64 s[8:9], vcc
	s_cbranch_execz .LBB2_1052
; %bb.1040:
	s_mov_b64 s[12:13], exec
	v_mbcnt_lo_u32_b32 v0, s12, 0
	v_mbcnt_hi_u32_b32 v0, s13, v0
	v_cmp_eq_u32_e32 vcc, 0, v0
	s_waitcnt lgkmcnt(0)
	buffer_wbinvl1_vol
	s_and_saveexec_b64 s[10:11], vcc
	s_cbranch_execz .LBB2_1042
; %bb.1041:
	s_bcnt1_i32_b64 s12, s[12:13]
	v_mov_b32_e32 v0, s12
	v_mov_b32_e32 v1, 0
	ds_add_u64 v0, v[0:1]
	s_trap 2
.LBB2_1042:
	s_or_b64 exec, exec, s[10:11]
	v_ashrrev_i32_e32 v0, 31, v20
	v_lshrrev_b32_e32 v0, 26, v0
	v_add_u32_e32 v0, v20, v0
	v_ashrrev_i32_e32 v0, 6, v0
	s_trap 2
	ds_read_b64 v[2:3], v0
	v_ashrrev_i32_e32 v1, 31, v0
	v_add_co_u32_e32 v0, vcc, v54, v0
	v_addc_co_u32_e32 v1, vcc, v55, v1, vcc
	s_waitcnt lgkmcnt(0)
	v_cmp_lt_u64_e32 vcc, v[2:3], v[0:1]
	s_and_saveexec_b64 s[10:11], vcc
	s_cbranch_execz .LBB2_1051
; %bb.1043:
	s_mov_b32 s24, 0
	s_mov_b64 s[12:13], 0
                                        ; implicit-def: $sgpr14_sgpr15
                                        ; implicit-def: $sgpr16_sgpr17
	s_branch .LBB2_1045
.LBB2_1044:                             ;   in Loop: Header=BB2_1045 Depth=1
	s_or_b64 exec, exec, s[22:23]
	s_and_b64 s[18:19], exec, s[20:21]
	s_or_b64 s[12:13], s[18:19], s[12:13]
	s_andn2_b64 s[14:15], s[14:15], exec
	s_and_b64 s[18:19], s[16:17], exec
	s_or_b64 s[14:15], s[14:15], s[18:19]
	s_andn2_b64 exec, exec, s[12:13]
	s_cbranch_execz .LBB2_1049
.LBB2_1045:                             ; =>This Inner Loop Header: Depth=1
	s_add_i32 s24, s24, 1
	s_cmpk_lg_i32 s24, 0x2710
	s_cselect_b64 s[18:19], -1, 0
	s_and_b64 vcc, exec, s[18:19]
                                        ; implicit-def: $sgpr22_sgpr23
	s_cbranch_vccnz .LBB2_1047
; %bb.1046:                             ;   in Loop: Header=BB2_1045 Depth=1
	s_trap 2
	ds_read_b64 v[2:3], v0
	s_andn2_b64 s[18:19], s[18:19], exec
	s_mov_b32 s24, 0
	s_mov_b64 s[22:23], -1
	s_waitcnt lgkmcnt(0)
	flat_load_dword v2, v[2:3] glc
	s_waitcnt vmcnt(0) lgkmcnt(0)
	buffer_invl2
	buffer_wbinvl1_vol
	v_cmp_eq_u32_e32 vcc, 0, v2
	s_and_b64 s[20:21], vcc, exec
	s_or_b64 s[18:19], s[18:19], s[20:21]
.LBB2_1047:                             ;   in Loop: Header=BB2_1045 Depth=1
	s_andn2_b64 s[16:17], s[16:17], exec
	s_and_b64 s[22:23], s[22:23], exec
	s_mov_b64 s[20:21], -1
	s_or_b64 s[16:17], s[16:17], s[22:23]
	s_and_saveexec_b64 s[22:23], s[18:19]
	s_cbranch_execz .LBB2_1044
; %bb.1048:                             ;   in Loop: Header=BB2_1045 Depth=1
	s_sleep 1
	s_trap 2
	ds_read_b64 v[2:3], v0
	s_andn2_b64 s[16:17], s[16:17], exec
	s_waitcnt lgkmcnt(0)
	v_cmp_ge_u64_e32 vcc, v[2:3], v[0:1]
	s_orn2_b64 s[20:21], vcc, exec
	s_branch .LBB2_1044
.LBB2_1049:
	s_or_b64 exec, exec, s[12:13]
	s_and_saveexec_b64 s[12:13], s[14:15]
	s_xor_b64 s[12:13], exec, s[12:13]
	s_cbranch_execz .LBB2_1051
; %bb.1050:
	v_mov_b32_e32 v0, 1
	ds_write_b32 v0, v0
	s_trap 2
.LBB2_1051:
	s_or_b64 exec, exec, s[10:11]
	;;#ASMSTART
	s_wakeup
	;;#ASMEND
.LBB2_1052:
	s_or_b64 exec, exec, s[8:9]
.LBB2_1053:
	s_andn2_saveexec_b64 s[6:7], s[6:7]
	s_cbranch_execz .LBB2_1055
; %bb.1054:
	s_waitcnt lgkmcnt(0)
	buffer_wbinvl1_vol
	s_barrier
.LBB2_1055:
	s_or_b64 exec, exec, s[4:5]
	buffer_load_dword a51, off, s[0:3], s32 ; 4-byte Folded Reload
	buffer_load_dword a50, off, s[0:3], s32 offset:4 ; 4-byte Folded Reload
	buffer_load_dword a48, off, s[0:3], s32 offset:8 ; 4-byte Folded Reload
	;; [unrolled: 1-line block ×33, first 2 shown]
	v_readlane_b32 s30, v63, 38
	v_readlane_b32 s31, v63, 39
	;; [unrolled: 1-line block ×40, first 2 shown]
	s_or_saveexec_b64 s[4:5], -1
	buffer_load_dword v63, off, s[0:3], s32 offset:136 ; 4-byte Folded Reload
	s_mov_b64 exec, s[4:5]
	s_waitcnt vmcnt(0) lgkmcnt(0)
	s_setpc_b64 s[30:31]
.Lfunc_end2:
	.size	_ZN12_GLOBAL__N_17runRingI14__hip_fp8_e4m313FuncPreMulSumIS1_E7ProtoLLLi0ELi2ELi0EEEviiP15ncclDevWorkColl, .Lfunc_end2-_ZN12_GLOBAL__N_17runRingI14__hip_fp8_e4m313FuncPreMulSumIS1_E7ProtoLLLi0ELi2ELi0EEEviiP15ncclDevWorkColl
                                        ; -- End function
	.section	.AMDGPU.csdata,"",@progbits
; Function info:
; codeLenInByte = 35420
; NumSgprs: 76
; NumVgprs: 64
; NumAgprs: 52
; TotalNumVgprs: 116
; ScratchSize: 144
; MemoryBound: 0
	.text
	.p2align	2                               ; -- Begin function _Z56ncclDevFunc_ReduceScatter_RING_LL_PreMulSum_f8e4m3_0_0_2v
	.type	_Z56ncclDevFunc_ReduceScatter_RING_LL_PreMulSum_f8e4m3_0_0_2v,@function
_Z56ncclDevFunc_ReduceScatter_RING_LL_PreMulSum_f8e4m3_0_0_2v: ; @_Z56ncclDevFunc_ReduceScatter_RING_LL_PreMulSum_f8e4m3_0_0_2v
; %bb.0:
	s_waitcnt vmcnt(0) expcnt(0) lgkmcnt(0)
	s_mov_b32 s4, s33
	s_mov_b32 s33, s32
	s_or_saveexec_b64 s[6:7], -1
	buffer_store_dword v43, off, s[0:3], s33 offset:16 ; 4-byte Folded Spill
	s_mov_b64 exec, s[6:7]
	v_writelane_b32 v43, s4, 48
	s_addk_i32 s32, 0x800
	buffer_store_dword v40, off, s[0:3], s33 offset:12 ; 4-byte Folded Spill
	buffer_store_dword v41, off, s[0:3], s33 offset:8 ; 4-byte Folded Spill
	;; [unrolled: 1-line block ×3, first 2 shown]
	buffer_store_dword v63, off, s[0:3], s33 ; 4-byte Folded Spill
	v_writelane_b32 v43, s34, 0
	v_writelane_b32 v43, s35, 1
	;; [unrolled: 1-line block ×48, first 2 shown]
	s_trap 2
	ds_read_b32 v0, v0
	v_mov_b32_e32 v40, v31
	v_and_b32_e32 v41, 0x3ff, v40
	s_mov_b32 s74, s12
	s_mov_b64 s[72:73], s[8:9]
	s_waitcnt lgkmcnt(0)
	v_cmp_lt_i32_e32 vcc, v41, v0
	s_and_saveexec_b64 s[4:5], vcc
	s_cbranch_execz .LBB3_5
; %bb.1:
	s_load_dword s6, s[72:73], 0x0
	v_mov_b32_e32 v1, 0
	s_mov_b32 s10, 0
	v_mov_b32_e32 v4, v41
                                        ; implicit-def: $vgpr2
	s_waitcnt lgkmcnt(0)
	s_cmp_lt_u32 s74, s6
	s_cselect_b32 s6, 12, 18
	s_add_u32 s6, s72, s6
	s_addc_u32 s7, s73, 0
	global_load_ushort v1, v1, s[6:7]
	s_trap 2
	ds_read_b32 v3, v0
	s_mov_b64 s[6:7], 0
	s_waitcnt vmcnt(0) lgkmcnt(0)
	v_mul_lo_u32 v3, v3, v1
	s_branch .LBB3_3
.LBB3_2:                                ;   in Loop: Header=BB3_3 Depth=1
	s_or_b64 exec, exec, s[8:9]
	v_add_u32_e32 v4, v4, v1
	v_cmp_ge_i32_e32 vcc, v4, v0
	s_or_b64 s[6:7], vcc, s[6:7]
	v_add_u32_e32 v2, v2, v3
	s_andn2_b64 exec, exec, s[6:7]
	s_cbranch_execz .LBB3_5
.LBB3_3:                                ; =>This Inner Loop Header: Depth=1
	ds_read_b32 v5, v2
	s_waitcnt lgkmcnt(0)
	v_and_b32_e32 v5, 0x1000000, v5
	v_cmp_ne_u32_e32 vcc, 0, v5
	s_and_saveexec_b64 s[8:9], vcc
	s_cbranch_execz .LBB3_2
; %bb.4:                                ;   in Loop: Header=BB3_3 Depth=1
	ds_read_b64 v[6:7], v2 offset:104
	s_waitcnt lgkmcnt(0)
	flat_load_ubyte v5, v[6:7]
	v_mov_b32_e32 v7, s10
	s_waitcnt vmcnt(0) lgkmcnt(0)
	v_and_b32_e32 v6, 0xffff, v5
	ds_write_b64 v2, v[6:7] offset:104
	s_branch .LBB3_2
.LBB3_5:
	s_or_b64 exec, exec, s[4:5]
	s_waitcnt lgkmcnt(0)
	s_barrier
	s_trap 2
	ds_read_b32 v0, v0
	s_waitcnt lgkmcnt(0)
	v_cmp_gt_i32_e32 vcc, 1, v0
	s_cbranch_vccnz .LBB3_13
; %bb.6:
	s_mov_b32 s75, 0
	s_mov_b64 s[76:77], src_shared_base
	v_mov_b32_e32 v42, 6
	s_branch .LBB3_8
.LBB3_7:                                ;   in Loop: Header=BB3_8 Depth=1
	s_or_b64 exec, exec, s[78:79]
	s_trap 2
	ds_read_b32 v0, v0
	s_add_i32 s75, s75, 1
	s_waitcnt lgkmcnt(0)
	v_cmp_lt_i32_e32 vcc, s75, v0
	s_cbranch_vccz .LBB3_13
.LBB3_8:                                ; =>This Inner Loop Header: Depth=1
	s_trap 2
	ds_read_b32 v0, v0
	s_cmp_eq_u32 s75, 0
	s_cbranch_scc1 .LBB3_11
; %bb.9:                                ;   in Loop: Header=BB3_8 Depth=1
	s_trap 2
	s_waitcnt lgkmcnt(0)
	ds_read_b32 v1, v0
	s_waitcnt lgkmcnt(0)
	v_xor_b32_e32 v1, v1, v0
	v_and_b32_e32 v1, 0xff0000, v1
	v_cmp_eq_u32_e32 vcc, 0, v1
	s_cbranch_vccnz .LBB3_11
; %bb.10:                               ;   in Loop: Header=BB3_8 Depth=1
	s_barrier
	ds_read_b32 v0, v0
.LBB3_11:                               ;   in Loop: Header=BB3_8 Depth=1
	s_waitcnt lgkmcnt(0)
	v_lshlrev_b32_sdwa v1, v42, v0 dst_sel:DWORD dst_unused:UNUSED_PAD src0_sel:DWORD src1_sel:BYTE_2
	v_cmp_lt_u32_e32 vcc, v41, v1
	s_and_saveexec_b64 s[78:79], vcc
	s_cbranch_execz .LBB3_7
; %bb.12:                               ;   in Loop: Header=BB3_8 Depth=1
	s_mov_b64 s[8:9], s[72:73]
	s_mov_b32 s12, s74
	v_mov_b32_e32 v31, v40
	v_mov_b32_e32 v0, v41
	v_mov_b32_e32 v3, s77
	s_getpc_b64 s[4:5]
	s_add_u32 s4, s4, _ZN12_GLOBAL__N_17runRingI14__hip_fp8_e4m313FuncPreMulSumIS1_E7ProtoLLLi0ELi2ELi0EEEviiP15ncclDevWorkColl@rel32@lo+4
	s_addc_u32 s5, s5, _ZN12_GLOBAL__N_17runRingI14__hip_fp8_e4m313FuncPreMulSumIS1_E7ProtoLLLi0ELi2ELi0EEEviiP15ncclDevWorkColl@rel32@hi+12
	s_swappc_b64 s[30:31], s[4:5]
	s_branch .LBB3_7
.LBB3_13:
	buffer_load_dword v63, off, s[0:3], s33 ; 4-byte Folded Reload
	buffer_load_dword v42, off, s[0:3], s33 offset:4 ; 4-byte Folded Reload
	buffer_load_dword v41, off, s[0:3], s33 offset:8 ; 4-byte Folded Reload
	;; [unrolled: 1-line block ×3, first 2 shown]
	v_readlane_b32 s30, v43, 46
	v_readlane_b32 s31, v43, 47
	;; [unrolled: 1-line block ×49, first 2 shown]
	s_or_saveexec_b64 s[6:7], -1
	buffer_load_dword v43, off, s[0:3], s33 offset:16 ; 4-byte Folded Reload
	s_mov_b64 exec, s[6:7]
	s_addk_i32 s32, 0xf800
	s_mov_b32 s33, s4
	s_waitcnt vmcnt(0)
	s_setpc_b64 s[30:31]
.Lfunc_end3:
	.size	_Z56ncclDevFunc_ReduceScatter_RING_LL_PreMulSum_f8e4m3_0_0_2v, .Lfunc_end3-_Z56ncclDevFunc_ReduceScatter_RING_LL_PreMulSum_f8e4m3_0_0_2v
                                        ; -- End function
	.section	.AMDGPU.csdata,"",@progbits
; Function info:
; codeLenInByte = 1376
; NumSgprs: 84
; NumVgprs: 64
; NumAgprs: 52
; TotalNumVgprs: 116
; ScratchSize: 176
; MemoryBound: 0
	.text
	.p2align	2                               ; -- Begin function _ZN12_GLOBAL__N_17runRingI14__hip_fp8_e4m313FuncPreMulSumIS1_E7ProtoLLLi0ELi4ELi0EEEviiP15ncclDevWorkColl
	.type	_ZN12_GLOBAL__N_17runRingI14__hip_fp8_e4m313FuncPreMulSumIS1_E7ProtoLLLi0ELi4ELi0EEEviiP15ncclDevWorkColl,@function
_ZN12_GLOBAL__N_17runRingI14__hip_fp8_e4m313FuncPreMulSumIS1_E7ProtoLLLi0ELi4ELi0EEEviiP15ncclDevWorkColl: ; @_ZN12_GLOBAL__N_17runRingI14__hip_fp8_e4m313FuncPreMulSumIS1_E7ProtoLLLi0ELi4ELi0EEEviiP15ncclDevWorkColl
; %bb.0:
	s_waitcnt vmcnt(0) expcnt(0) lgkmcnt(0)
	s_or_saveexec_b64 s[4:5], -1
	buffer_store_dword v63, off, s[0:3], s32 offset:136 ; 4-byte Folded Spill
	s_mov_b64 exec, s[4:5]
	buffer_store_dword v40, off, s[0:3], s32 offset:132 ; 4-byte Folded Spill
	buffer_store_dword v41, off, s[0:3], s32 offset:128 ; 4-byte Folded Spill
	;; [unrolled: 1-line block ×33, first 2 shown]
	buffer_store_dword a51, off, s[0:3], s32 ; 4-byte Folded Spill
	v_writelane_b32 v63, s34, 0
	v_writelane_b32 v63, s35, 1
	;; [unrolled: 1-line block ×40, first 2 shown]
	s_trap 2
	flat_load_dword v7, v[2:3]
	flat_load_dwordx4 v[22:25], v[2:3] offset:72
	flat_load_dwordx2 v[18:19], v[2:3] offset:88
	ds_read_b32 v5, v0
	ds_read_b64 a[6:7], v0
	v_mov_b32_e32 v20, v1
                                        ; implicit-def: $agpr8_agpr9
	s_waitcnt lgkmcnt(0)
	v_readfirstlane_b32 s20, v5
	s_waitcnt vmcnt(0)
	v_not_b32_sdwa v6, v7 dst_sel:DWORD dst_unused:UNUSED_PAD src0_sel:BYTE_0
	v_add_u32_sdwa v4, v7, v6 dst_sel:DWORD dst_unused:UNUSED_PAD src0_sel:BYTE_1 src1_sel:DWORD
	v_ashrrev_i32_e32 v10, 31, v4
	v_mul_lo_u32 v11, v25, v4
	v_mad_u64_u32 v[8:9], s[4:5], v24, v4, 0
	v_mul_lo_u32 v4, v24, v10
	v_add3_u32 v4, v9, v4, v11
	v_cmp_ne_u32_sdwa s[4:5], v7, v5 src0_sel:BYTE_0 src1_sel:DWORD
                                        ; implicit-def: $vgpr10_vgpr11
	s_and_saveexec_b64 s[6:7], s[4:5]
	s_xor_b64 s[4:5], exec, s[6:7]
	s_cbranch_execz .LBB4_6
; %bb.1:
	v_cmp_ne_u32_sdwa s[6:7], v7, v5 src0_sel:BYTE_1 src1_sel:DWORD
                                        ; implicit-def: $vgpr10_vgpr11
                                        ; implicit-def: $agpr8_agpr9
	s_and_saveexec_b64 s[10:11], s[6:7]
	s_xor_b64 s[6:7], exec, s[10:11]
	s_cbranch_execz .LBB4_3
; %bb.2:
	flat_load_dwordx2 v[10:11], v[2:3] offset:96
	v_add_u32_e32 v5, v5, v6
	v_ashrrev_i32_e32 v6, 31, v5
	v_mul_lo_u32 v6, v24, v6
	v_mul_lo_u32 v7, v25, v5
	v_mad_u64_u32 v[12:13], s[10:11], v24, v5, v[22:23]
	v_add3_u32 v13, v7, v13, v6
	v_accvgpr_write_b32 a8, v12
	v_accvgpr_write_b32 a9, v13
	s_waitcnt vmcnt(0) lgkmcnt(0)
	v_lshrrev_b64 v[10:11], 17, v[10:11]
.LBB4_3:
	s_andn2_saveexec_b64 s[6:7], s[6:7]
	s_cbranch_execz .LBB4_5
; %bb.4:
	flat_load_dword v5, v[2:3] offset:100
	v_add_co_u32_e32 v6, vcc, v8, v22
	v_addc_co_u32_e32 v7, vcc, v4, v23, vcc
	v_accvgpr_write_b32 a9, v7
	v_accvgpr_write_b32 a8, v6
	v_pk_mov_b32 v[24:25], v[18:19], v[18:19] op_sel:[0,1]
	s_waitcnt vmcnt(0) lgkmcnt(0)
	v_lshrrev_b32_e32 v10, 6, v5
.LBB4_5:
	s_or_b64 exec, exec, s[6:7]
.LBB4_6:
	s_andn2_saveexec_b64 s[4:5], s[4:5]
	s_cbranch_execz .LBB4_8
; %bb.7:
	flat_load_dwordx2 v[6:7], v[2:3] offset:96
	v_pk_mov_b32 v[10:11], 0, 0
	v_accvgpr_write_b32 a8, v10
	v_accvgpr_write_b32 a9, v11
	v_pk_mov_b32 v[24:25], v[22:23], v[22:23] op_sel:[0,1]
	s_waitcnt vmcnt(0) lgkmcnt(0)
	v_lshlrev_b64 v[10:11], 4, v[6:7]
.LBB4_8:
	s_or_b64 exec, exec, s[4:5]
	flat_load_dwordx2 v[14:15], v[2:3] offset:104
	flat_load_dwordx4 a[10:13], v[2:3] offset:16
	flat_load_ushort v13, v[2:3] offset:8
	flat_load_dword v12, v[2:3] offset:4
	v_mov_b32_e32 v2, 0
	s_mov_b32 s13, 0
	v_mov_b32_e32 v62, 0
	s_waitcnt vmcnt(0) lgkmcnt(0)
	v_cmp_ne_u16_sdwa s[6:7], v14, v2 src0_sel:BYTE_0 src1_sel:DWORD
	s_and_saveexec_b64 s[4:5], s[6:7]
	s_cbranch_execz .LBB4_14
; %bb.9:
	s_movk_i32 s6, 0x80
	v_cmp_ne_u16_sdwa s[10:11], v14, s6 src0_sel:BYTE_0 src1_sel:DWORD
	v_bfrev_b32_e32 v62, 1
	s_and_saveexec_b64 s[6:7], s[10:11]
	s_cbranch_execz .LBB4_13
; %bb.10:
	s_movk_i32 s10, 0x7f
	v_and_b32_e32 v3, 0x7f, v14
	v_cmp_ne_u32_e32 vcc, s10, v3
	v_mov_b32_e32 v62, 0x7f800001
	s_and_saveexec_b64 s[10:11], vcc
	s_cbranch_execz .LBB4_12
; %bb.11:
	v_and_b32_e32 v5, 7, v14
	v_ffbh_u32_e32 v5, v5
	v_min_u32_e32 v5, 32, v5
	v_lshrrev_b32_e32 v6, 3, v3
	v_subrev_u32_e32 v7, 28, v5
	v_sub_u32_e32 v5, 29, v5
	v_cmp_gt_u32_e32 vcc, 8, v3
	v_cndmask_b32_e32 v3, v6, v5, vcc
	v_cndmask_b32_e32 v5, 0, v7, vcc
	v_lshlrev_b64 v[6:7], v5, v[14:15]
	v_lshlrev_b32_e32 v5, 20, v6
	v_lshlrev_b32_e32 v6, 24, v14
	v_bfrev_b32_e32 v7, 60
	v_and_b32_e32 v5, 0x700000, v5
	v_and_b32_e32 v6, 0x80000000, v6
	v_lshl_add_u32 v3, v3, 23, v7
	v_or3_b32 v62, v6, v3, v5
.LBB4_12:
	s_or_b64 exec, exec, s[10:11]
.LBB4_13:
	s_or_b64 exec, exec, s[6:7]
.LBB4_14:
	s_or_b64 exec, exec, s[4:5]
	s_load_dword s4, s[8:9], 0x0
	v_lshrrev_b64 v[6:7], 31, v[12:13]
	v_mov_b32_e32 v12, v0
	v_and_b32_e32 v5, 63, v12
	v_and_b32_e32 v6, 3, v6
	s_waitcnt lgkmcnt(0)
	s_cmp_lt_u32 s12, s4
	s_cselect_b32 s4, 12, 18
	s_add_u32 s4, s8, s4
	s_addc_u32 s5, s9, 0
	global_load_ushort v9, v2, s[4:5]
	s_trap 2
	ds_read_b32 v2, v0
	v_pk_mov_b32 v[26:27], 0, 0
	v_cmp_eq_u32_e64 s[4:5], 0, v5
	s_waitcnt lgkmcnt(0)
	v_cmp_gt_i32_e32 vcc, 0, v2
	v_readfirstlane_b32 s8, v2
	s_cbranch_vccnz .LBB4_16
; %bb.15:
	s_trap 2
	ds_read_b64 v[12:13], v0
	v_mov_b32_e32 v3, 0
	v_lshlrev_b64 v[2:3], 3, v[2:3]
	v_and_b32_e32 v7, 0xffff, v6
	s_movk_i32 s6, 0xa8
	s_waitcnt lgkmcnt(0)
	v_add_co_u32_e32 v2, vcc, v12, v2
	v_addc_co_u32_e32 v3, vcc, v13, v3, vcc
	flat_load_dwordx2 v[2:3], v[2:3]
	s_mov_b32 s13, 1
	s_waitcnt vmcnt(0) lgkmcnt(0)
	v_mad_u64_u32 v[2:3], s[6:7], v7, s6, v[2:3]
	flat_load_dwordx2 a[18:19], v[2:3] offset:504
	flat_load_dwordx2 v[34:35], v[2:3] offset:608
	v_add_co_u32_e32 v2, vcc, 0x1f8, v2
	v_addc_co_u32_e32 v3, vcc, 0, v3, vcc
	v_cndmask_b32_e64 v29, 0, v3, s[4:5]
	v_cndmask_b32_e64 v28, 0, v2, s[4:5]
	s_branch .LBB4_17
.LBB4_16:
	v_pk_mov_b32 v[28:29], v[26:27], v[26:27] op_sel:[0,1]
                                        ; implicit-def: $vgpr34_vgpr35
                                        ; implicit-def: $agpr18_agpr19
.LBB4_17:
	s_trap 2
	ds_read_b32 v2, v0
	s_waitcnt lgkmcnt(0)
	v_cmp_gt_i32_e32 vcc, 0, v2
	s_cbranch_vccnz .LBB4_19
; %bb.18:
	s_trap 2
	ds_read_b64 v[12:13], v0
	v_mov_b32_e32 v3, 0
	v_lshlrev_b64 v[2:3], 3, v[2:3]
	v_and_b32_e32 v6, 0xffff, v6
	s_movk_i32 s4, 0xa8
	s_waitcnt lgkmcnt(0)
	v_add_co_u32_e32 v2, vcc, v12, v2
	v_addc_co_u32_e32 v3, vcc, v13, v3, vcc
	flat_load_dwordx2 v[2:3], v[2:3]
	v_cmp_eq_u32_e32 vcc, 0, v5
	s_waitcnt vmcnt(0) lgkmcnt(0)
	v_mad_u64_u32 v[2:3], s[4:5], v6, s4, v[2:3]
	flat_load_dwordx2 a[20:21], v[2:3]
	flat_load_dwordx2 v[16:17], v[2:3] offset:104
	v_cndmask_b32_e32 v27, 0, v3, vcc
	v_cndmask_b32_e32 v26, 0, v2, vcc
	s_branch .LBB4_20
.LBB4_19:
                                        ; implicit-def: $vgpr16_vgpr17
                                        ; implicit-def: $agpr20_agpr21
.LBB4_20:
	v_subrev_u32_e32 v2, 64, v20
	v_mov_b32_e32 v6, v0
	v_pk_mov_b32 v[12:13], 0, 0
	v_cmp_le_i32_e32 vcc, v2, v6
	v_cmp_gt_u32_e64 s[4:5], s13, v5
	v_accvgpr_write_b32 a25, v13
	s_and_b64 s[22:23], vcc, s[4:5]
	v_accvgpr_write_b32 a24, v12
                                        ; implicit-def: $agpr22_agpr23
	s_and_saveexec_b64 s[4:5], s[22:23]
	s_cbranch_execz .LBB4_22
; %bb.21:
	flat_load_dwordx2 a[24:25], v[28:29] offset:56
	flat_load_dwordx2 a[22:23], v[28:29] offset:104
.LBB4_22:
	s_or_b64 exec, exec, s[4:5]
	v_mov_b32_e32 v2, v0
	v_accvgpr_write_b32 a27, v13
	v_cmp_gt_i32_e64 s[4:5], s13, v2
	v_accvgpr_write_b32 a26, v12
                                        ; implicit-def: $vgpr52_vgpr53
	s_and_saveexec_b64 s[6:7], s[4:5]
	s_cbranch_execz .LBB4_24
; %bb.23:
	flat_load_dwordx2 v[2:3], v[26:27] offset:56
	s_waitcnt vmcnt(0) lgkmcnt(0)
	flat_load_dwordx2 v[52:53], v[2:3] glc
	s_waitcnt vmcnt(0)
	flat_load_dwordx4 v[12:15], v[26:27] offset:96
	v_accvgpr_write_b32 a27, v3
	v_accvgpr_write_b32 a26, v2
.LBB4_24:
	s_or_b64 exec, exec, s[6:7]
	v_cmp_ne_u64_e32 vcc, 0, v[24:25]
	v_pk_mov_b32 v[54:55], 0, 0
	s_and_saveexec_b64 s[24:25], vcc
	s_cbranch_execz .LBB4_1032
; %bb.25:
	v_add_co_u32_e32 v1, vcc, v18, v22
	s_ashr_i32 s6, s8, 31
	v_addc_co_u32_e32 v2, vcc, v19, v23, vcc
	s_lshr_b32 s6, s6, 29
	v_add_co_u32_e32 v1, vcc, v1, v8
	s_ashr_i32 s21, s20, 31
	s_add_i32 s8, s8, s6
	v_accvgpr_write_b32 a3, v1
	v_addc_co_u32_e32 v1, vcc, v2, v4, vcc
	s_lshl_b64 s[6:7], s[20:21], 2
	v_accvgpr_read_b32 v2, a6
	v_accvgpr_write_b32 a28, v1
	v_mov_b32_e32 v1, s7
	v_accvgpr_read_b32 v3, a7
	v_add_co_u32_e32 v2, vcc, s6, v2
	v_addc_co_u32_e32 v1, vcc, v3, v1, vcc
	v_add_co_u32_e32 v2, vcc, -4, v2
	v_addc_co_u32_e32 v3, vcc, -1, v1, vcc
	v_accvgpr_write_b32 a31, v3
	v_and_b32_e32 v1, 63, v31
	v_ashrrev_i32_e32 v21, 31, v20
	v_accvgpr_write_b32 a30, v2
	v_accvgpr_read_b32 v2, a26
	v_cmp_eq_u32_e64 s[12:13], 0, v1
	v_lshrrev_b32_e32 v1, 26, v21
	v_accvgpr_read_b32 v3, a27
	v_add_u32_e32 v1, v20, v1
	v_cmp_ne_u64_e64 s[6:7], 0, v[2:3]
	v_ashrrev_i32_e32 v2, 6, v1
	v_accvgpr_write_b32 a32, v2
	v_ashrrev_i32_e32 v1, 31, v2
	v_accvgpr_read_b32 v2, a10
	v_lshlrev_b32_e32 v6, 3, v0
	v_accvgpr_read_b32 v4, a12
	v_accvgpr_write_b32 a29, v1
	v_ashrrev_i32_e32 v1, 31, v6
	v_accvgpr_read_b32 v5, a13
	v_add_co_u32_e32 v7, vcc, v4, v6
	v_addc_co_u32_e32 v8, vcc, v5, v1, vcc
	v_accvgpr_read_b32 v3, a11
	v_add_co_u32_e32 v2, vcc, v2, v6
	v_accvgpr_write_b32 a37, v2
	v_accvgpr_write_b32 a33, v1
	v_addc_co_u32_e32 v1, vcc, v3, v1, vcc
	v_accvgpr_read_b32 v2, a8
	v_accvgpr_read_b32 v3, a9
	v_add_co_u32_e32 v2, vcc, v7, v2
	v_addc_co_u32_e32 v3, vcc, v8, v3, vcc
	v_accvgpr_write_b32 a38, v1
	v_accvgpr_write_b32 a41, v3
	v_ashrrev_i32_e32 v1, 31, v0
	s_ashr_i32 s10, s8, 3
	v_accvgpr_write_b32 a40, v2
	v_accvgpr_write_b32 a2, v0
	v_lshlrev_b64 v[0:1], 4, v[0:1]
	s_waitcnt vmcnt(0) lgkmcnt(0)
	v_accvgpr_read_b32 v2, a20
	s_ashr_i32 s58, s8, 7
	s_and_b32 s21, s10, -16
	v_accvgpr_read_b32 v4, a24
	v_accvgpr_read_b32 v3, a21
	v_add_co_u32_e32 v0, vcc, v2, v0
	v_accvgpr_write_b32 a16, v28
	v_accvgpr_write_b32 a14, v26
	v_mov_b32_e32 v43, 0
	v_accvgpr_write_b32 a1, v9
	v_cmp_ne_u32_sdwa s[28:29], v9, v20 src0_sel:WORD_0 src1_sel:DWORD
	v_lshlrev_b32_e32 v56, 3, v20
	s_cmp_gt_i32 s20, 2
	v_accvgpr_read_b32 v5, a25
	v_accvgpr_write_b32 a36, v8
	v_lshlrev_b32_e32 v38, 6, v20
	v_accvgpr_write_b32 a42, v0
	v_addc_co_u32_e32 v0, vcc, v3, v1, vcc
	v_pk_mov_b32 v[8:9], 0, 0
	v_accvgpr_write_b32 a17, v29
	v_accvgpr_write_b32 a15, v27
	v_and_b32_e32 v10, 0x1fffff0, v10
	v_mov_b32_e32 v11, v43
	s_mov_b64 s[26:27], 0
	v_cmp_ne_u64_e64 s[8:9], 0, v[12:13]
	v_cmp_ne_u32_e64 s[10:11], 64, v20
	v_accvgpr_write_b32 a0, v31
	s_cselect_b64 s[30:31], -1, 0
	v_cmp_ne_u64_e64 s[14:15], 0, v[4:5]
	v_accvgpr_write_b32 a34, v6
	v_accvgpr_write_b32 a35, v7
	;; [unrolled: 1-line block ×3, first 2 shown]
	s_movk_i32 s59, 0x2710
	s_mov_b64 s[34:35], 0x7ffffff8
	s_movk_i32 s60, 0xff
	s_movk_i32 s61, 0x80
	;; [unrolled: 1-line block ×3, first 2 shown]
	s_mov_b64 s[36:37], 0x7f800000
	s_mov_b64 s[38:39], 0x43e00001
	s_movk_i32 s63, 0x7a
	s_mov_b64 s[40:41], 0xffffff
	s_mov_b32 s64, 0xffffff
	s_mov_b32 s65, 0xc0c0500
	;; [unrolled: 1-line block ×6, first 2 shown]
	v_bfrev_b32_e32 v47, 60
	v_mov_b32_e32 v30, 0xffffff82
	v_mov_b32_e32 v6, 0x78
	;; [unrolled: 1-line block ×4, first 2 shown]
	v_ashrrev_i32_e32 v45, 31, v56
	v_lshlrev_b64 v[58:59], 4, v[20:21]
	v_pk_mov_b32 v[54:55], v[8:9], v[8:9] op_sel:[0,1]
	v_accvgpr_write_b32 a39, v38
	s_branch .LBB4_27
.LBB4_26:                               ;   in Loop: Header=BB4_27 Depth=1
	s_or_b64 exec, exec, s[16:17]
	v_add_co_u32_e32 v34, vcc, 1, v34
	v_addc_co_u32_e32 v35, vcc, 0, v35, vcc
	v_add_co_u32_e32 v8, vcc, v8, v2
	v_accvgpr_read_b32 v25, a5
	v_addc_co_u32_e32 v9, vcc, 0, v9, vcc
	v_accvgpr_read_b32 v24, a4
	v_cmp_ge_u64_e32 vcc, v[8:9], v[24:25]
	v_accvgpr_read_b32 v0, a40
	s_or_b64 s[26:27], vcc, s[26:27]
	v_accvgpr_read_b32 v1, a41
	v_add_co_u32_e32 v0, vcc, v0, v2
	v_addc_co_u32_e32 v1, vcc, 0, v1, vcc
	v_accvgpr_write_b32 a41, v1
	v_accvgpr_write_b32 a40, v0
	v_pk_mov_b32 v[10:11], v[2:3], v[2:3] op_sel:[0,1]
	s_andn2_b64 exec, exec, s[26:27]
	s_cbranch_execz .LBB4_1031
.LBB4_27:                               ; =>This Loop Header: Depth=1
                                        ;     Child Loop BB4_34 Depth 2
                                        ;     Child Loop BB4_51 Depth 2
                                        ;     Child Loop BB4_65 Depth 2
                                        ;     Child Loop BB4_216 Depth 2
                                        ;     Child Loop BB4_220 Depth 2
                                        ;       Child Loop BB4_235 Depth 3
                                        ;       Child Loop BB4_251 Depth 3
	;; [unrolled: 1-line block ×3, first 2 shown]
                                        ;         Child Loop BB4_272 Depth 4
                                        ;       Child Loop BB4_624 Depth 3
                                        ;       Child Loop BB4_228 Depth 3
                                        ;     Child Loop BB4_639 Depth 2
                                        ;       Child Loop BB4_647 Depth 3
                                        ;     Child Loop BB4_1019 Depth 2
	v_accvgpr_read_b32 v0, a30
	v_accvgpr_read_b32 v1, a31
	flat_load_dword v2, v[0:1]
	v_sub_co_u32_e32 v0, vcc, v24, v8
	v_subb_co_u32_e32 v1, vcc, v25, v9, vcc
	v_cmp_lt_u64_e32 vcc, v[10:11], v[0:1]
	v_cndmask_b32_e32 v3, v0, v10, vcc
	v_lshl_add_u32 v0, v3, 1, 14
	v_accvgpr_write_b32 a4, v24
	v_accvgpr_write_b32 a10, v10
	v_and_b32_e32 v0, 0x7fffff0, v0
	v_accvgpr_write_b32 a5, v25
	v_accvgpr_write_b32 a11, v11
	;; [unrolled: 1-line block ×3, first 2 shown]
	s_mov_b64 s[16:17], exec
	v_accvgpr_write_b32 a45, v9
	s_and_b64 s[18:19], s[16:17], s[6:7]
	v_accvgpr_write_b32 a44, v8
	s_mov_b64 exec, s[18:19]
	s_cbranch_execz .LBB4_43
; %bb.28:                               ;   in Loop: Header=BB4_27 Depth=1
	v_add_co_u32_e32 v0, vcc, 1, v14
	v_addc_co_u32_e32 v1, vcc, 0, v15, vcc
	v_add_co_u32_e32 v4, vcc, 8, v52
	v_addc_co_u32_e32 v5, vcc, 0, v53, vcc
	v_cmp_lt_u64_e32 vcc, v[4:5], v[0:1]
	s_and_saveexec_b64 s[18:19], vcc
	s_cbranch_execz .LBB4_40
; %bb.29:                               ;   in Loop: Header=BB4_27 Depth=1
	v_accvgpr_read_b32 v4, a26
	v_accvgpr_read_b32 v5, a27
	s_sleep 1
	flat_load_dwordx2 v[52:53], v[4:5] glc
	v_cmp_eq_u32_e32 vcc, 0, v40
	s_and_saveexec_b64 s[42:43], vcc
	s_cbranch_execz .LBB4_39
; %bb.30:                               ;   in Loop: Header=BB4_27 Depth=1
	v_cndmask_b32_e64 v4, 0, 1, vcc
	s_mov_b64 s[44:45], 0
                                        ; implicit-def: $sgpr46_sgpr47
	s_branch .LBB4_34
.LBB4_31:                               ;   in Loop: Header=BB4_34 Depth=2
	s_or_b64 exec, exec, s[54:55]
	s_orn2_b64 s[52:53], s[52:53], exec
.LBB4_32:                               ;   in Loop: Header=BB4_34 Depth=2
	s_or_b64 exec, exec, s[50:51]
	s_xor_b64 vcc, s[52:53], -1
	s_andn2_b64 s[46:47], s[46:47], exec
	s_and_b64 vcc, vcc, exec
	s_or_b64 s[46:47], s[46:47], vcc
.LBB4_33:                               ;   in Loop: Header=BB4_34 Depth=2
	s_or_b64 exec, exec, s[48:49]
	s_and_b64 vcc, exec, s[46:47]
	s_or_b64 s[44:45], vcc, s[44:45]
	s_andn2_b64 exec, exec, s[44:45]
	s_cbranch_execz .LBB4_38
.LBB4_34:                               ;   Parent Loop BB4_27 Depth=1
                                        ; =>  This Inner Loop Header: Depth=2
	s_waitcnt vmcnt(0) lgkmcnt(0)
	v_add_co_u32_e32 v8, vcc, 8, v52
	v_addc_co_u32_e32 v9, vcc, 0, v53, vcc
	v_cmp_lt_u64_e32 vcc, v[8:9], v[0:1]
	v_mov_b32_e32 v40, 0
	s_or_b64 s[46:47], s[46:47], exec
	s_and_saveexec_b64 s[48:49], vcc
	s_cbranch_execz .LBB4_33
; %bb.35:                               ;   in Loop: Header=BB4_34 Depth=2
	v_accvgpr_read_b32 v8, a26
	v_accvgpr_read_b32 v9, a27
	s_sleep 1
	flat_load_dwordx2 v[52:53], v[8:9] glc
	v_add_u32_e32 v4, 1, v4
	v_cmp_eq_u32_e32 vcc, s59, v4
	s_mov_b64 s[52:53], -1
	v_mov_b32_e32 v40, 0
	s_and_saveexec_b64 s[50:51], vcc
	s_cbranch_execz .LBB4_32
; %bb.36:                               ;   in Loop: Header=BB4_34 Depth=2
	s_trap 2
	ds_read_b64 v[4:5], v0
	v_mov_b32_e32 v40, 0
	s_waitcnt vmcnt(0) lgkmcnt(0)
	flat_load_dword v5, v[4:5] glc
	s_waitcnt vmcnt(0) lgkmcnt(0)
	buffer_invl2
	buffer_wbinvl1_vol
	v_mov_b32_e32 v4, 0
	v_cmp_ne_u32_e32 vcc, 0, v5
	s_and_saveexec_b64 s[54:55], vcc
	s_cbranch_execz .LBB4_31
; %bb.37:                               ;   in Loop: Header=BB4_34 Depth=2
	v_mov_b32_e32 v40, 1
	s_xor_b64 s[52:53], exec, -1
	ds_write_b32 v0, v5
	s_trap 2
	s_branch .LBB4_31
.LBB4_38:                               ;   in Loop: Header=BB4_27 Depth=1
	s_or_b64 exec, exec, s[44:45]
	v_accvgpr_read_b32 v8, a44
	v_accvgpr_read_b32 v9, a45
.LBB4_39:                               ;   in Loop: Header=BB4_27 Depth=1
	s_or_b64 exec, exec, s[42:43]
.LBB4_40:                               ;   in Loop: Header=BB4_27 Depth=1
	s_or_b64 exec, exec, s[18:19]
	s_and_saveexec_b64 s[18:19], s[8:9]
	s_cbranch_execz .LBB4_42
; %bb.41:                               ;   in Loop: Header=BB4_27 Depth=1
	v_and_b32_e32 v42, 0x7ffffff8, v14
	v_mov_b32_e32 v4, s21
	v_cmp_eq_u64_e32 vcc, s[34:35], v[42:43]
	v_accvgpr_read_b32 v5, a46
	v_cndmask_b32_e32 v4, v5, v4, vcc
	v_and_b32_e32 v8, 7, v14
	v_ashrrev_i32_e32 v5, 31, v4
	v_mad_u64_u32 v[8:9], vcc, v8, 24, v[12:13]
	flat_store_dwordx2 v[8:9], v[4:5] offset:8
	s_waitcnt vmcnt(0)
	v_accvgpr_read_b32 v8, a44
	v_accvgpr_read_b32 v9, a45
.LBB4_42:                               ;   in Loop: Header=BB4_27 Depth=1
	s_or_b64 exec, exec, s[18:19]
	v_pk_mov_b32 v[14:15], v[0:1], v[0:1] op_sel:[0,1]
.LBB4_43:                               ;   in Loop: Header=BB4_27 Depth=1
	s_or_b64 exec, exec, s[16:17]
	s_and_saveexec_b64 s[16:17], s[10:11]
	s_cbranch_execz .LBB4_62
; %bb.44:                               ;   in Loop: Header=BB4_27 Depth=1
	s_and_saveexec_b64 s[18:19], s[28:29]
	s_xor_b64 s[18:19], exec, s[18:19]
	s_cbranch_execz .LBB4_59
; %bb.45:                               ;   in Loop: Header=BB4_27 Depth=1
	s_and_saveexec_b64 s[42:43], s[12:13]
	s_cbranch_execz .LBB4_58
; %bb.46:                               ;   in Loop: Header=BB4_27 Depth=1
	s_mov_b64 s[46:47], exec
	v_mbcnt_lo_u32_b32 v0, s46, 0
	v_mbcnt_hi_u32_b32 v0, s47, v0
	v_cmp_eq_u32_e32 vcc, 0, v0
	s_waitcnt vmcnt(0) lgkmcnt(0)
	buffer_wbinvl1_vol
	s_and_saveexec_b64 s[44:45], vcc
	s_cbranch_execz .LBB4_48
; %bb.47:                               ;   in Loop: Header=BB4_27 Depth=1
	s_bcnt1_i32_b64 vcc_lo, s[46:47]
	v_mov_b32_e32 v42, vcc_lo
	ds_add_u64 v0, v[42:43]
	s_trap 2
.LBB4_48:                               ;   in Loop: Header=BB4_27 Depth=1
	s_or_b64 exec, exec, s[44:45]
	s_trap 2
	ds_read_b64 v[0:1], v0
	v_accvgpr_read_b32 v4, a32
	v_add_co_u32_e32 v54, vcc, v54, v4
	v_accvgpr_read_b32 v5, a29
	v_addc_co_u32_e32 v55, vcc, v55, v5, vcc
	s_waitcnt lgkmcnt(0)
	v_cmp_lt_u64_e32 vcc, v[0:1], v[54:55]
	s_and_saveexec_b64 s[44:45], vcc
	s_cbranch_execz .LBB4_57
; %bb.49:                               ;   in Loop: Header=BB4_27 Depth=1
	s_mov_b32 s56, 0
	s_mov_b64 s[46:47], 0
                                        ; implicit-def: $sgpr48_sgpr49
                                        ; implicit-def: $sgpr50_sgpr51
	s_branch .LBB4_51
.LBB4_50:                               ;   in Loop: Header=BB4_51 Depth=2
	s_or_b64 exec, exec, s[54:55]
	s_and_b64 vcc, exec, vcc
	s_or_b64 s[46:47], vcc, s[46:47]
	s_andn2_b64 vcc, s[48:49], exec
	s_and_b64 s[48:49], s[50:51], exec
	s_or_b64 s[48:49], vcc, s[48:49]
	s_andn2_b64 exec, exec, s[46:47]
	s_cbranch_execz .LBB4_55
.LBB4_51:                               ;   Parent Loop BB4_27 Depth=1
                                        ; =>  This Inner Loop Header: Depth=2
	s_add_i32 s56, s56, 1
	s_cmpk_lg_i32 s56, 0x2710
	s_cselect_b64 s[52:53], -1, 0
	s_and_b64 vcc, exec, s[52:53]
                                        ; implicit-def: $sgpr54_sgpr55
	s_cbranch_vccnz .LBB4_53
; %bb.52:                               ;   in Loop: Header=BB4_51 Depth=2
	s_trap 2
	ds_read_b64 v[0:1], v0
	s_andn2_b64 s[52:53], s[52:53], exec
	s_mov_b32 s56, 0
	s_mov_b64 s[54:55], -1
	s_waitcnt lgkmcnt(0)
	flat_load_dword v0, v[0:1] glc
	s_waitcnt vmcnt(0) lgkmcnt(0)
	buffer_invl2
	buffer_wbinvl1_vol
	v_cmp_eq_u32_e32 vcc, 0, v0
	s_and_b64 vcc, vcc, exec
	s_or_b64 s[52:53], s[52:53], vcc
.LBB4_53:                               ;   in Loop: Header=BB4_51 Depth=2
	s_andn2_b64 s[50:51], s[50:51], exec
	s_and_b64 s[54:55], s[54:55], exec
	s_mov_b64 vcc, -1
	s_or_b64 s[50:51], s[50:51], s[54:55]
	s_and_saveexec_b64 s[54:55], s[52:53]
	s_cbranch_execz .LBB4_50
; %bb.54:                               ;   in Loop: Header=BB4_51 Depth=2
	s_sleep 1
	s_trap 2
	ds_read_b64 v[0:1], v0
	s_andn2_b64 s[50:51], s[50:51], exec
	s_waitcnt lgkmcnt(0)
	v_cmp_ge_u64_e32 vcc, v[0:1], v[54:55]
	s_orn2_b64 vcc, vcc, exec
	s_branch .LBB4_50
.LBB4_55:                               ;   in Loop: Header=BB4_27 Depth=1
	s_or_b64 exec, exec, s[46:47]
	s_and_saveexec_b64 vcc, s[48:49]
	s_xor_b64 vcc, exec, vcc
	s_cbranch_execz .LBB4_57
; %bb.56:                               ;   in Loop: Header=BB4_27 Depth=1
	v_mov_b32_e32 v0, 1
	ds_write_b32 v0, v0
	s_trap 2
.LBB4_57:                               ;   in Loop: Header=BB4_27 Depth=1
	s_or_b64 exec, exec, s[44:45]
	;;#ASMSTART
	s_wakeup
	;;#ASMEND
.LBB4_58:                               ;   in Loop: Header=BB4_27 Depth=1
	s_or_b64 exec, exec, s[42:43]
.LBB4_59:                               ;   in Loop: Header=BB4_27 Depth=1
	s_andn2_saveexec_b64 s[18:19], s[18:19]
	s_cbranch_execz .LBB4_61
; %bb.60:                               ;   in Loop: Header=BB4_27 Depth=1
	s_waitcnt vmcnt(0) lgkmcnt(0)
	buffer_wbinvl1_vol
	s_barrier
.LBB4_61:                               ;   in Loop: Header=BB4_27 Depth=1
	s_or_b64 exec, exec, s[18:19]
.LBB4_62:                               ;   in Loop: Header=BB4_27 Depth=1
	s_or_b64 exec, exec, s[16:17]
	v_accvgpr_read_b32 v0, a34
	v_sub_u32_e32 v32, v3, v0
	v_cmp_lt_i32_e64 s[16:17], 0, v32
	v_and_b32_e32 v1, 7, v16
	v_accvgpr_read_b32 v0, a2
	s_and_saveexec_b64 s[42:43], s[16:17]
	s_cbranch_execz .LBB4_214
; %bb.63:                               ;   in Loop: Header=BB4_27 Depth=1
	v_accvgpr_read_b32 v22, a40
	s_waitcnt vmcnt(0) lgkmcnt(0)
	v_ashrrev_i32_e32 v0, 31, v2
	v_accvgpr_read_b32 v18, a3
	v_accvgpr_read_b32 v23, a41
	;; [unrolled: 1-line block ×3, first 2 shown]
	v_mul_lo_u32 v4, v1, s58
	v_mad_u64_u32 v[10:11], s[18:19], v18, v2, v[22:23]
	v_mul_lo_u32 v9, v9, v2
	v_mul_lo_u32 v0, v18, v0
	v_ashrrev_i32_e32 v5, 31, v4
	v_mov_b32_e32 v3, v16
	v_add_co_u32_e64 v8, vcc, 0, 0
	v_add3_u32 v11, v9, v11, v0
	v_mul_lo_u32 v0, v18, v2
	v_addc_co_u32_e32 v3, vcc, 1, v3, vcc
	v_add_lshl_u32 v9, v22, v0, 3
	v_lshlrev_b64 v[4:5], 4, v[4:5]
	v_accvgpr_read_b32 v0, a42
	v_add_co_u32_e32 v18, vcc, v0, v4
	v_accvgpr_read_b32 v0, a43
	v_addc_co_u32_e32 v19, vcc, v0, v5, vcc
	s_mov_b64 s[44:45], 0
	v_mov_b32_e32 v21, v32
	v_accvgpr_read_b32 v0, a2
	s_branch .LBB4_65
.LBB4_64:                               ;   in Loop: Header=BB4_65 Depth=2
	s_or_b64 exec, exec, s[18:19]
	v_and_b32_e32 v2, 0xff, v26
	v_lshlrev_b32_e32 v2, 16, v2
	v_lshlrev_b32_e32 v5, 8, v25
	v_perm_b32 v22, v29, v28, s66
	v_add_co_u32_e32 v10, vcc, v10, v56
	v_lshl_or_b32 v2, v27, 24, v2
	v_perm_b32 v5, v5, v24, s65
	v_lshlrev_b32_e32 v4, 24, v4
	v_lshl_or_b32 v22, v31, 16, v22
	v_sub_u32_e32 v21, v21, v56
	v_addc_co_u32_e32 v11, vcc, v11, v45, vcc
	v_or3_b32 v2, v2, v5, v8
	v_or3_b32 v4, v22, v4, v8
	v_mov_b32_e32 v5, v3
	v_cmp_gt_i32_e32 vcc, 1, v21
	global_store_dwordx4 v[18:19], v[2:5], off
	s_or_b64 s[44:45], vcc, s[44:45]
	v_add_co_u32_e32 v18, vcc, v18, v58
	v_add_u32_e32 v0, v0, v20
	v_add_u32_e32 v9, v9, v38
	v_addc_co_u32_e32 v19, vcc, v19, v59, vcc
	s_andn2_b64 exec, exec, s[44:45]
	s_cbranch_execz .LBB4_213
.LBB4_65:                               ;   Parent Loop BB4_27 Depth=1
                                        ; =>  This Inner Loop Header: Depth=2
	v_and_b32_e32 v4, -4, v10
	v_mov_b32_e32 v5, v11
	global_load_dword v26, v[4:5], off glc slc
	v_min_u32_e32 v22, 8, v21
	v_and_b32_e32 v23, 3, v10
	v_add_co_u32_e32 v24, vcc, v23, v22
	v_addc_co_u32_e64 v25, s[18:19], 0, 0, vcc
	v_mov_b32_e32 v2, 0
	v_cmp_lt_u64_e32 vcc, 4, v[24:25]
	v_mov_b32_e32 v28, 0
	s_and_saveexec_b64 s[18:19], vcc
	s_cbranch_execz .LBB4_67
; %bb.66:                               ;   in Loop: Header=BB4_65 Depth=2
	global_load_dword v28, v[4:5], off offset:4 glc slc
.LBB4_67:                               ;   in Loop: Header=BB4_65 Depth=2
	s_or_b64 exec, exec, s[18:19]
	v_cmp_lt_u64_e32 vcc, 8, v[24:25]
	v_mov_b32_e32 v29, 0
	s_and_saveexec_b64 s[18:19], vcc
	s_cbranch_execz .LBB4_69
; %bb.68:                               ;   in Loop: Header=BB4_65 Depth=2
	global_load_dword v29, v[4:5], off offset:8 glc slc
.LBB4_69:                               ;   in Loop: Header=BB4_65 Depth=2
	s_or_b64 exec, exec, s[18:19]
	s_waitcnt vmcnt(0)
	v_alignbit_b32 v42, v28, v26, v9
	v_cmp_ne_u16_sdwa vcc, v42, v43 src0_sel:BYTE_0 src1_sel:DWORD
	s_and_saveexec_b64 s[18:19], vcc
	s_cbranch_execz .LBB4_75
; %bb.70:                               ;   in Loop: Header=BB4_65 Depth=2
	v_cmp_ne_u16_sdwa vcc, v42, s61 src0_sel:BYTE_0 src1_sel:DWORD
	v_bfrev_b32_e32 v2, 1
	s_and_saveexec_b64 s[46:47], vcc
	s_cbranch_execz .LBB4_74
; %bb.71:                               ;   in Loop: Header=BB4_65 Depth=2
	v_and_b32_e32 v4, 0x7f, v42
	v_cmp_ne_u32_e32 vcc, s62, v4
	v_mov_b32_e32 v2, 0x7f800001
	s_and_saveexec_b64 s[48:49], vcc
	s_cbranch_execz .LBB4_73
; %bb.72:                               ;   in Loop: Header=BB4_65 Depth=2
	v_and_b32_e32 v2, 7, v42
	v_ffbh_u32_e32 v2, v2
	v_min_u32_e32 v2, 32, v2
	v_subrev_u32_e32 v22, 28, v2
	v_cmp_gt_u32_e32 vcc, 8, v4
	v_lshrrev_b32_e32 v5, 3, v4
	v_sub_u32_e32 v2, 29, v2
	v_cndmask_b32_e32 v4, 0, v22, vcc
	v_cndmask_b32_e32 v2, v5, v2, vcc
	v_lshlrev_b64 v[4:5], v4, v[42:43]
	v_lshlrev_b32_e32 v4, 20, v4
	v_lshlrev_b32_e32 v5, 24, v42
	v_and_b32_e32 v4, 0x700000, v4
	v_and_b32_e32 v5, 0x80000000, v5
	v_lshl_add_u32 v2, v2, 23, v47
	v_or3_b32 v2, v5, v2, v4
.LBB4_73:                               ;   in Loop: Header=BB4_65 Depth=2
	s_or_b64 exec, exec, s[48:49]
.LBB4_74:                               ;   in Loop: Header=BB4_65 Depth=2
	s_or_b64 exec, exec, s[46:47]
.LBB4_75:                               ;   in Loop: Header=BB4_65 Depth=2
	s_or_b64 exec, exec, s[18:19]
	v_mul_f32_e32 v25, v62, v2
	v_and_b32_sdwa v2, v25, s61 dst_sel:DWORD dst_unused:UNUSED_PAD src0_sel:BYTE_3 src1_sel:DWORD
	v_and_b32_e32 v22, 0x7f800000, v25
	v_mov_b32_e32 v23, v43
	v_and_b32_e32 v4, 0x7fffff, v25
	v_mov_b32_e32 v5, v43
	v_or_b32_e32 v24, 0x7e, v2
	v_cmp_ne_u64_e32 vcc, s[36:37], v[22:23]
	s_and_saveexec_b64 s[18:19], vcc
	s_xor_b64 s[46:47], exec, s[18:19]
	s_cbranch_execz .LBB4_85
; %bb.76:                               ;   in Loop: Header=BB4_65 Depth=2
	v_and_b32_e32 v22, 0x7fffffff, v25
	v_mov_b32_e32 v23, v43
	v_cmp_gt_u64_e32 vcc, s[38:39], v[22:23]
	s_and_saveexec_b64 s[48:49], vcc
	s_cbranch_execz .LBB4_84
; %bb.77:                               ;   in Loop: Header=BB4_65 Depth=2
	v_cmp_ne_u32_e32 vcc, 0, v25
	v_mov_b32_e32 v24, 0
	s_and_saveexec_b64 s[50:51], vcc
	s_cbranch_execz .LBB4_83
; %bb.78:                               ;   in Loop: Header=BB4_65 Depth=2
	v_bfe_u32 v22, v25, 23, 8
	v_cmp_eq_u32_e32 vcc, 0, v22
	v_add_u32_e32 v23, 0xffffff81, v22
	v_cmp_gt_u32_e64 s[18:19], s63, v22
	v_sub_u32_e32 v22, 0x79, v22
	v_cndmask_b32_e64 v22, 0, v22, s[18:19]
	v_cndmask_b32_e32 v27, v22, v6, vcc
	v_add_u32_e32 v22, 20, v27
	v_or_b32_e32 v24, 0x800000, v4
	v_cndmask_b32_e32 v26, v23, v30, vcc
	v_lshlrev_b64 v[22:23], v22, -1
	v_cndmask_b32_e32 v4, v24, v4, vcc
	v_not_b32_e32 v23, v23
	v_not_b32_e32 v22, v22
	v_add_u32_e32 v24, 19, v27
	v_and_b32_e32 v23, 0, v23
	v_and_b32_e32 v22, v4, v22
	v_lshlrev_b64 v[24:25], v24, 1
	v_lshrrev_b64 v[4:5], v27, v[4:5]
	v_cmp_eq_u64_e32 vcc, v[22:23], v[24:25]
	v_lshrrev_b32_e32 v22, 23, v4
	v_add3_u32 v26, v27, v26, v22
	v_bfe_u32 v22, v4, 20, 1
	v_add_u32_e32 v22, -1, v22
	v_cndmask_b32_e32 v22, 0, v22, vcc
	v_add_u32_e32 v22, v22, v4
	v_and_b32_e32 v22, 0xfffff, v22
	v_add_co_u32_e32 v4, vcc, v22, v4
	v_add_u32_e32 v25, 6, v26
	v_addc_co_u32_e32 v5, vcc, 0, v5, vcc
	v_cmp_ne_u32_e32 vcc, 0, v25
                                        ; implicit-def: $vgpr24
	s_and_saveexec_b64 s[18:19], vcc
	s_xor_b64 s[18:19], exec, s[18:19]
; %bb.79:                               ;   in Loop: Header=BB4_65 Depth=2
	v_add_u32_e32 v22, 7, v26
	v_cmp_lt_u64_e32 vcc, s[40:41], v[4:5]
	v_cndmask_b32_e32 v24, v25, v22, vcc
	v_cndmask_b32_e64 v22, 0, 1, vcc
	v_lshrrev_b64 v[4:5], v22, v[4:5]
; %bb.80:                               ;   in Loop: Header=BB4_65 Depth=2
	s_andn2_saveexec_b64 s[18:19], s[18:19]
; %bb.81:                               ;   in Loop: Header=BB4_65 Depth=2
	v_bfe_u32 v24, v4, 23, 1
; %bb.82:                               ;   in Loop: Header=BB4_65 Depth=2
	s_or_b64 exec, exec, s[18:19]
	v_lshrrev_b64 v[4:5], 20, v[4:5]
	v_cmp_gt_i32_e32 vcc, 16, v24
	v_cndmask_b32_e32 v5, 0, v5, vcc
	v_cndmask_b32_e32 v4, 7, v4, vcc
	v_cmp_eq_u64_e64 s[18:19], 0, v[4:5]
	v_min_i32_e32 v5, 15, v24
	v_cmp_eq_u32_e32 vcc, 0, v24
	v_lshlrev_b32_e32 v5, 3, v5
	v_and_or_b32 v4, v4, 7, v5
	s_and_b64 s[18:19], vcc, s[18:19]
	v_cndmask_b32_e64 v4, v4, 0, s[18:19]
	v_or_b32_e32 v24, v4, v2
.LBB4_83:                               ;   in Loop: Header=BB4_65 Depth=2
	s_or_b64 exec, exec, s[50:51]
.LBB4_84:                               ;   in Loop: Header=BB4_65 Depth=2
	s_or_b64 exec, exec, s[48:49]
                                        ; implicit-def: $vgpr25
                                        ; implicit-def: $vgpr4_vgpr5
.LBB4_85:                               ;   in Loop: Header=BB4_65 Depth=2
	s_andn2_saveexec_b64 s[18:19], s[46:47]
; %bb.86:                               ;   in Loop: Header=BB4_65 Depth=2
	v_or_b32_sdwa v2, v25, s62 dst_sel:DWORD dst_unused:UNUSED_PAD src0_sel:BYTE_3 src1_sel:DWORD
	v_cmp_eq_u64_e32 vcc, 0, v[4:5]
	v_cndmask_b32_e32 v24, v2, v24, vcc
; %bb.87:                               ;   in Loop: Header=BB4_65 Depth=2
	s_or_b64 exec, exec, s[18:19]
	v_lshrrev_b16_e32 v2, 8, v42
	v_cmp_ne_u16_e32 vcc, 0, v2
	v_mov_b32_e32 v4, 0
	s_and_saveexec_b64 s[18:19], vcc
	s_cbranch_execz .LBB4_93
; %bb.88:                               ;   in Loop: Header=BB4_65 Depth=2
	v_cmp_ne_u16_e32 vcc, s61, v2
	v_bfrev_b32_e32 v4, 1
	s_and_saveexec_b64 s[46:47], vcc
	s_cbranch_execz .LBB4_92
; %bb.89:                               ;   in Loop: Header=BB4_65 Depth=2
	v_and_b32_e32 v5, 0x7f, v2
	v_cmp_ne_u32_e32 vcc, s62, v5
	v_mov_b32_e32 v4, 0x7f800001
	s_and_saveexec_b64 s[48:49], vcc
	s_cbranch_execz .LBB4_91
; %bb.90:                               ;   in Loop: Header=BB4_65 Depth=2
	v_and_b32_e32 v4, 7, v2
	v_ffbh_u32_e32 v22, v4
	v_min_u32_e32 v26, 32, v22
	v_subrev_u32_e32 v22, 28, v26
	v_lshlrev_b64 v[22:23], v22, v[2:3]
	v_lshrrev_b32_e32 v25, 3, v5
	v_sub_u32_e32 v2, 29, v26
	v_and_b32_e32 v22, 7, v22
	v_cmp_gt_u32_e32 vcc, 8, v5
	v_cndmask_b32_e32 v2, v25, v2, vcc
	v_cndmask_b32_e32 v4, v4, v22, vcc
	v_lshlrev_b32_e32 v5, 16, v42
	v_lshlrev_b32_e32 v4, 20, v4
	v_and_b32_e32 v5, 0x80000000, v5
	v_lshl_add_u32 v2, v2, 23, v47
	v_or3_b32 v4, v5, v2, v4
.LBB4_91:                               ;   in Loop: Header=BB4_65 Depth=2
	s_or_b64 exec, exec, s[48:49]
.LBB4_92:                               ;   in Loop: Header=BB4_65 Depth=2
	s_or_b64 exec, exec, s[46:47]
.LBB4_93:                               ;   in Loop: Header=BB4_65 Depth=2
	s_or_b64 exec, exec, s[18:19]
	v_mul_f32_e32 v26, v62, v4
	v_and_b32_sdwa v2, v26, s61 dst_sel:DWORD dst_unused:UNUSED_PAD src0_sel:BYTE_3 src1_sel:DWORD
	v_and_b32_e32 v22, 0x7f800000, v26
	v_mov_b32_e32 v23, v43
	v_and_b32_e32 v4, 0x7fffff, v26
	v_mov_b32_e32 v5, v43
	v_or_b32_e32 v25, 0x7e, v2
	v_cmp_ne_u64_e32 vcc, s[36:37], v[22:23]
	s_and_saveexec_b64 s[18:19], vcc
	s_xor_b64 s[46:47], exec, s[18:19]
	s_cbranch_execz .LBB4_103
; %bb.94:                               ;   in Loop: Header=BB4_65 Depth=2
	v_and_b32_e32 v22, 0x7fffffff, v26
	v_mov_b32_e32 v23, v43
	v_cmp_gt_u64_e32 vcc, s[38:39], v[22:23]
	s_and_saveexec_b64 s[48:49], vcc
	s_cbranch_execz .LBB4_102
; %bb.95:                               ;   in Loop: Header=BB4_65 Depth=2
	v_cmp_ne_u32_e32 vcc, 0, v26
	v_mov_b32_e32 v25, 0
	s_and_saveexec_b64 s[50:51], vcc
	s_cbranch_execz .LBB4_101
; %bb.96:                               ;   in Loop: Header=BB4_65 Depth=2
	v_bfe_u32 v22, v26, 23, 8
	v_sub_u32_e32 v25, 0x79, v22
	v_cmp_gt_u32_e32 vcc, s63, v22
	v_cndmask_b32_e32 v25, 0, v25, vcc
	v_cmp_eq_u32_e32 vcc, 0, v22
	v_cndmask_b32_e32 v25, v25, v6, vcc
	v_add_u32_e32 v23, 0xffffff81, v22
	v_add_u32_e32 v22, 20, v25
	v_or_b32_e32 v26, 0x800000, v4
	v_cndmask_b32_e32 v27, v23, v30, vcc
	v_lshlrev_b64 v[22:23], v22, -1
	v_cndmask_b32_e32 v4, v26, v4, vcc
	v_not_b32_e32 v22, v22
	v_and_b32_e32 v22, v4, v22
	v_add_u32_e32 v26, 19, v25
	v_lshrrev_b64 v[4:5], v25, v[4:5]
	v_not_b32_e32 v23, v23
	v_lshlrev_b64 v[48:49], v26, 1
	v_lshrrev_b32_e32 v26, 23, v4
	v_and_b32_e32 v23, 0, v23
	v_add3_u32 v27, v25, v27, v26
	v_bfe_u32 v25, v4, 20, 1
	v_add_u32_e32 v25, -1, v25
	v_cmp_eq_u64_e32 vcc, v[22:23], v[48:49]
	v_cndmask_b32_e32 v22, 0, v25, vcc
	v_add_u32_e32 v22, v22, v4
	v_and_b32_e32 v22, 0xfffff, v22
	v_add_co_u32_e32 v4, vcc, v22, v4
	v_add_u32_e32 v26, 6, v27
	v_addc_co_u32_e32 v5, vcc, 0, v5, vcc
	v_cmp_ne_u32_e32 vcc, 0, v26
                                        ; implicit-def: $vgpr25
	s_and_saveexec_b64 s[18:19], vcc
	s_xor_b64 s[18:19], exec, s[18:19]
; %bb.97:                               ;   in Loop: Header=BB4_65 Depth=2
	v_add_u32_e32 v22, 7, v27
	v_cmp_lt_u64_e32 vcc, s[40:41], v[4:5]
	v_cndmask_b32_e32 v25, v26, v22, vcc
	v_cndmask_b32_e64 v22, 0, 1, vcc
	v_lshrrev_b64 v[4:5], v22, v[4:5]
; %bb.98:                               ;   in Loop: Header=BB4_65 Depth=2
	s_andn2_saveexec_b64 s[18:19], s[18:19]
; %bb.99:                               ;   in Loop: Header=BB4_65 Depth=2
	v_bfe_u32 v25, v4, 23, 1
; %bb.100:                              ;   in Loop: Header=BB4_65 Depth=2
	s_or_b64 exec, exec, s[18:19]
	v_lshrrev_b64 v[4:5], 20, v[4:5]
	v_cmp_gt_i32_e32 vcc, 16, v25
	v_cndmask_b32_e32 v5, 0, v5, vcc
	v_cndmask_b32_e32 v4, 7, v4, vcc
	v_cmp_eq_u64_e64 s[18:19], 0, v[4:5]
	v_min_i32_e32 v5, 15, v25
	v_cmp_eq_u32_e32 vcc, 0, v25
	v_lshlrev_b32_e32 v5, 3, v5
	v_and_or_b32 v4, v4, 7, v5
	s_and_b64 s[18:19], vcc, s[18:19]
	v_cndmask_b32_e64 v4, v4, 0, s[18:19]
	v_or_b32_e32 v25, v4, v2
.LBB4_101:                              ;   in Loop: Header=BB4_65 Depth=2
	s_or_b64 exec, exec, s[50:51]
.LBB4_102:                              ;   in Loop: Header=BB4_65 Depth=2
	s_or_b64 exec, exec, s[48:49]
                                        ; implicit-def: $vgpr26
                                        ; implicit-def: $vgpr4_vgpr5
.LBB4_103:                              ;   in Loop: Header=BB4_65 Depth=2
	s_andn2_saveexec_b64 s[18:19], s[46:47]
; %bb.104:                              ;   in Loop: Header=BB4_65 Depth=2
	v_or_b32_sdwa v2, v26, s62 dst_sel:DWORD dst_unused:UNUSED_PAD src0_sel:BYTE_3 src1_sel:DWORD
	v_cmp_eq_u64_e32 vcc, 0, v[4:5]
	v_cndmask_b32_e32 v25, v2, v25, vcc
; %bb.105:                              ;   in Loop: Header=BB4_65 Depth=2
	s_or_b64 exec, exec, s[18:19]
	v_and_b32_sdwa v5, v42, s60 dst_sel:DWORD dst_unused:UNUSED_PAD src0_sel:WORD_1 src1_sel:DWORD
	v_lshrrev_b32_e32 v2, 16, v42
	v_cmp_ne_u16_e32 vcc, 0, v5
	v_mov_b32_e32 v4, 0
	s_and_saveexec_b64 s[18:19], vcc
	s_cbranch_execz .LBB4_111
; %bb.106:                              ;   in Loop: Header=BB4_65 Depth=2
	v_cmp_ne_u16_e32 vcc, s61, v5
	v_bfrev_b32_e32 v4, 1
	s_and_saveexec_b64 s[46:47], vcc
	s_cbranch_execz .LBB4_110
; %bb.107:                              ;   in Loop: Header=BB4_65 Depth=2
	v_bfe_u32 v5, v42, 16, 7
	v_cmp_ne_u32_e32 vcc, s62, v5
	v_mov_b32_e32 v4, 0x7f800001
	s_and_saveexec_b64 s[48:49], vcc
	s_cbranch_execz .LBB4_109
; %bb.108:                              ;   in Loop: Header=BB4_65 Depth=2
	v_and_b32_e32 v4, 7, v2
	v_ffbh_u32_e32 v22, v4
	v_min_u32_e32 v27, 32, v22
	v_subrev_u32_e32 v22, 28, v27
	v_lshlrev_b64 v[22:23], v22, v[2:3]
	v_lshrrev_b32_e32 v26, 3, v5
	v_sub_u32_e32 v2, 29, v27
	v_and_b32_e32 v22, 7, v22
	v_cmp_gt_u32_e32 vcc, 8, v5
	v_cndmask_b32_e32 v2, v26, v2, vcc
	v_cndmask_b32_e32 v4, v4, v22, vcc
	v_lshlrev_b32_sdwa v5, v7, v42 dst_sel:DWORD dst_unused:UNUSED_PAD src0_sel:DWORD src1_sel:WORD_1
	v_lshlrev_b32_e32 v4, 20, v4
	v_and_b32_e32 v5, 0x80000000, v5
	v_lshl_add_u32 v2, v2, 23, v47
	v_or3_b32 v4, v5, v2, v4
.LBB4_109:                              ;   in Loop: Header=BB4_65 Depth=2
	s_or_b64 exec, exec, s[48:49]
.LBB4_110:                              ;   in Loop: Header=BB4_65 Depth=2
	s_or_b64 exec, exec, s[46:47]
.LBB4_111:                              ;   in Loop: Header=BB4_65 Depth=2
	s_or_b64 exec, exec, s[18:19]
	v_mul_f32_e32 v27, v62, v4
	v_and_b32_sdwa v2, v27, s61 dst_sel:DWORD dst_unused:UNUSED_PAD src0_sel:BYTE_3 src1_sel:DWORD
	v_and_b32_e32 v22, 0x7f800000, v27
	v_mov_b32_e32 v23, v43
	v_and_b32_e32 v4, 0x7fffff, v27
	v_mov_b32_e32 v5, v43
	v_or_b32_e32 v26, 0x7e, v2
	v_cmp_ne_u64_e32 vcc, s[36:37], v[22:23]
	s_and_saveexec_b64 s[18:19], vcc
	s_xor_b64 s[46:47], exec, s[18:19]
	s_cbranch_execz .LBB4_121
; %bb.112:                              ;   in Loop: Header=BB4_65 Depth=2
	v_and_b32_e32 v22, 0x7fffffff, v27
	v_mov_b32_e32 v23, v43
	v_cmp_gt_u64_e32 vcc, s[38:39], v[22:23]
	s_and_saveexec_b64 s[48:49], vcc
	s_cbranch_execz .LBB4_120
; %bb.113:                              ;   in Loop: Header=BB4_65 Depth=2
	v_cmp_ne_u32_e32 vcc, 0, v27
	v_mov_b32_e32 v26, 0
	s_and_saveexec_b64 s[50:51], vcc
	s_cbranch_execz .LBB4_119
; %bb.114:                              ;   in Loop: Header=BB4_65 Depth=2
	v_bfe_u32 v22, v27, 23, 8
	v_sub_u32_e32 v26, 0x79, v22
	v_cmp_gt_u32_e32 vcc, s63, v22
	v_cndmask_b32_e32 v26, 0, v26, vcc
	v_cmp_eq_u32_e32 vcc, 0, v22
	v_cndmask_b32_e32 v26, v26, v6, vcc
	v_add_u32_e32 v23, 0xffffff81, v22
	v_add_u32_e32 v22, 20, v26
	v_or_b32_e32 v27, 0x800000, v4
	v_cndmask_b32_e32 v31, v23, v30, vcc
	v_lshlrev_b64 v[22:23], v22, -1
	v_cndmask_b32_e32 v4, v27, v4, vcc
	v_not_b32_e32 v22, v22
	v_and_b32_e32 v22, v4, v22
	v_add_u32_e32 v27, 19, v26
	v_lshrrev_b64 v[4:5], v26, v[4:5]
	v_not_b32_e32 v23, v23
	v_lshlrev_b64 v[48:49], v27, 1
	v_lshrrev_b32_e32 v27, 23, v4
	v_and_b32_e32 v23, 0, v23
	v_add3_u32 v31, v26, v31, v27
	v_bfe_u32 v26, v4, 20, 1
	v_add_u32_e32 v26, -1, v26
	v_cmp_eq_u64_e32 vcc, v[22:23], v[48:49]
	v_cndmask_b32_e32 v22, 0, v26, vcc
	v_add_u32_e32 v22, v22, v4
	v_and_b32_e32 v22, 0xfffff, v22
	v_add_co_u32_e32 v4, vcc, v22, v4
	v_add_u32_e32 v27, 6, v31
	v_addc_co_u32_e32 v5, vcc, 0, v5, vcc
	v_cmp_ne_u32_e32 vcc, 0, v27
                                        ; implicit-def: $vgpr26
	s_and_saveexec_b64 s[18:19], vcc
	s_xor_b64 s[18:19], exec, s[18:19]
; %bb.115:                              ;   in Loop: Header=BB4_65 Depth=2
	v_add_u32_e32 v22, 7, v31
	v_cmp_lt_u64_e32 vcc, s[40:41], v[4:5]
	v_cndmask_b32_e32 v26, v27, v22, vcc
	v_cndmask_b32_e64 v22, 0, 1, vcc
	v_lshrrev_b64 v[4:5], v22, v[4:5]
; %bb.116:                              ;   in Loop: Header=BB4_65 Depth=2
	s_andn2_saveexec_b64 s[18:19], s[18:19]
; %bb.117:                              ;   in Loop: Header=BB4_65 Depth=2
	v_bfe_u32 v26, v4, 23, 1
; %bb.118:                              ;   in Loop: Header=BB4_65 Depth=2
	s_or_b64 exec, exec, s[18:19]
	v_lshrrev_b64 v[4:5], 20, v[4:5]
	v_cmp_gt_i32_e32 vcc, 16, v26
	v_cndmask_b32_e32 v5, 0, v5, vcc
	v_cndmask_b32_e32 v4, 7, v4, vcc
	v_cmp_eq_u64_e64 s[18:19], 0, v[4:5]
	v_min_i32_e32 v5, 15, v26
	v_cmp_eq_u32_e32 vcc, 0, v26
	v_lshlrev_b32_e32 v5, 3, v5
	v_and_or_b32 v4, v4, 7, v5
	s_and_b64 s[18:19], vcc, s[18:19]
	v_cndmask_b32_e64 v4, v4, 0, s[18:19]
	v_or_b32_e32 v26, v4, v2
.LBB4_119:                              ;   in Loop: Header=BB4_65 Depth=2
	s_or_b64 exec, exec, s[50:51]
.LBB4_120:                              ;   in Loop: Header=BB4_65 Depth=2
	s_or_b64 exec, exec, s[48:49]
                                        ; implicit-def: $vgpr27
                                        ; implicit-def: $vgpr4_vgpr5
.LBB4_121:                              ;   in Loop: Header=BB4_65 Depth=2
	s_andn2_saveexec_b64 s[18:19], s[46:47]
; %bb.122:                              ;   in Loop: Header=BB4_65 Depth=2
	v_or_b32_sdwa v2, v27, s62 dst_sel:DWORD dst_unused:UNUSED_PAD src0_sel:BYTE_3 src1_sel:DWORD
	v_cmp_eq_u64_e32 vcc, 0, v[4:5]
	v_cndmask_b32_e32 v26, v2, v26, vcc
; %bb.123:                              ;   in Loop: Header=BB4_65 Depth=2
	s_or_b64 exec, exec, s[18:19]
	v_cmp_lt_u32_e32 vcc, s64, v42
	v_mov_b32_e32 v4, 0
	s_and_saveexec_b64 s[18:19], vcc
	s_cbranch_execz .LBB4_129
; %bb.124:                              ;   in Loop: Header=BB4_65 Depth=2
	v_lshrrev_b32_e32 v2, 24, v42
	v_cmp_ne_u32_sdwa vcc, v42, s61 src0_sel:BYTE_3 src1_sel:DWORD
	v_bfrev_b32_e32 v4, 1
	s_and_saveexec_b64 s[46:47], vcc
	s_cbranch_execz .LBB4_128
; %bb.125:                              ;   in Loop: Header=BB4_65 Depth=2
	v_bfe_u32 v5, v42, 24, 7
	v_cmp_ne_u32_e32 vcc, s62, v5
	v_mov_b32_e32 v4, 0x7f800001
	s_and_saveexec_b64 s[48:49], vcc
	s_cbranch_execz .LBB4_127
; %bb.126:                              ;   in Loop: Header=BB4_65 Depth=2
	v_and_b32_e32 v4, 7, v2
	v_ffbh_u32_e32 v22, v4
	v_min_u32_e32 v31, 32, v22
	v_subrev_u32_e32 v22, 28, v31
	v_lshlrev_b64 v[22:23], v22, v[2:3]
	v_lshrrev_b32_e32 v27, 3, v5
	v_sub_u32_e32 v2, 29, v31
	v_and_b32_e32 v22, 7, v22
	v_cmp_gt_u32_e32 vcc, 8, v5
	v_cndmask_b32_e32 v2, v27, v2, vcc
	v_cndmask_b32_e32 v4, v4, v22, vcc
	v_lshlrev_b32_sdwa v5, v7, v42 dst_sel:DWORD dst_unused:UNUSED_PAD src0_sel:DWORD src1_sel:BYTE_3
	v_lshlrev_b32_e32 v4, 20, v4
	v_and_b32_e32 v5, 0x80000000, v5
	v_lshl_add_u32 v2, v2, 23, v47
	v_or3_b32 v4, v5, v2, v4
.LBB4_127:                              ;   in Loop: Header=BB4_65 Depth=2
	s_or_b64 exec, exec, s[48:49]
.LBB4_128:                              ;   in Loop: Header=BB4_65 Depth=2
	s_or_b64 exec, exec, s[46:47]
.LBB4_129:                              ;   in Loop: Header=BB4_65 Depth=2
	s_or_b64 exec, exec, s[18:19]
	v_mul_f32_e32 v4, v62, v4
	v_and_b32_sdwa v2, v4, s61 dst_sel:DWORD dst_unused:UNUSED_PAD src0_sel:BYTE_3 src1_sel:DWORD
	v_and_b32_e32 v22, 0x7f800000, v4
	v_mov_b32_e32 v23, v43
	v_and_b32_e32 v42, 0x7fffff, v4
	v_or_b32_e32 v27, 0x7e, v2
	v_cmp_ne_u64_e32 vcc, s[36:37], v[22:23]
	s_and_saveexec_b64 s[18:19], vcc
	s_xor_b64 s[46:47], exec, s[18:19]
	s_cbranch_execz .LBB4_139
; %bb.130:                              ;   in Loop: Header=BB4_65 Depth=2
	v_and_b32_e32 v22, 0x7fffffff, v4
	v_mov_b32_e32 v23, v43
	v_cmp_gt_u64_e32 vcc, s[38:39], v[22:23]
	s_and_saveexec_b64 s[48:49], vcc
	s_cbranch_execz .LBB4_138
; %bb.131:                              ;   in Loop: Header=BB4_65 Depth=2
	v_cmp_ne_u32_e32 vcc, 0, v4
	v_mov_b32_e32 v27, 0
	s_and_saveexec_b64 s[50:51], vcc
	s_cbranch_execz .LBB4_137
; %bb.132:                              ;   in Loop: Header=BB4_65 Depth=2
	v_bfe_u32 v4, v4, 23, 8
	v_sub_u32_e32 v22, 0x79, v4
	v_cmp_gt_u32_e32 vcc, s63, v4
	v_cndmask_b32_e32 v22, 0, v22, vcc
	v_cmp_eq_u32_e32 vcc, 0, v4
	v_or_b32_e32 v23, 0x800000, v42
	v_cndmask_b32_e32 v31, v22, v6, vcc
	v_add_u32_e32 v5, 0xffffff81, v4
	v_cndmask_b32_e32 v42, v23, v42, vcc
	v_add_u32_e32 v4, 20, v31
	v_cndmask_b32_e32 v27, v5, v30, vcc
	v_lshlrev_b64 v[4:5], v4, -1
	v_lshrrev_b64 v[48:49], v31, v[42:43]
	v_not_b32_e32 v5, v5
	v_not_b32_e32 v4, v4
	v_add_u32_e32 v22, 19, v31
	v_lshrrev_b32_e32 v33, 23, v48
	v_and_b32_e32 v5, 0, v5
	v_and_b32_e32 v4, v42, v4
	v_lshlrev_b64 v[22:23], v22, 1
	v_add3_u32 v33, v31, v27, v33
	v_bfe_u32 v27, v48, 20, 1
	v_add_u32_e32 v27, -1, v27
	v_cmp_eq_u64_e32 vcc, v[4:5], v[22:23]
	v_cndmask_b32_e32 v4, 0, v27, vcc
	v_add_u32_e32 v4, v4, v48
	v_and_b32_e32 v4, 0xfffff, v4
	v_add_co_u32_e32 v4, vcc, v4, v48
	v_add_u32_e32 v31, 6, v33
	v_addc_co_u32_e32 v5, vcc, 0, v49, vcc
	v_cmp_ne_u32_e32 vcc, 0, v31
                                        ; implicit-def: $vgpr27
	s_and_saveexec_b64 s[18:19], vcc
	s_xor_b64 s[18:19], exec, s[18:19]
; %bb.133:                              ;   in Loop: Header=BB4_65 Depth=2
	v_add_u32_e32 v22, 7, v33
	v_cmp_lt_u64_e32 vcc, s[40:41], v[4:5]
	v_cndmask_b32_e32 v27, v31, v22, vcc
	v_cndmask_b32_e64 v22, 0, 1, vcc
	v_lshrrev_b64 v[4:5], v22, v[4:5]
; %bb.134:                              ;   in Loop: Header=BB4_65 Depth=2
	s_andn2_saveexec_b64 s[18:19], s[18:19]
; %bb.135:                              ;   in Loop: Header=BB4_65 Depth=2
	v_bfe_u32 v27, v4, 23, 1
; %bb.136:                              ;   in Loop: Header=BB4_65 Depth=2
	s_or_b64 exec, exec, s[18:19]
	v_lshrrev_b64 v[4:5], 20, v[4:5]
	v_cmp_gt_i32_e32 vcc, 16, v27
	v_cndmask_b32_e32 v5, 0, v5, vcc
	v_cndmask_b32_e32 v4, 7, v4, vcc
	v_cmp_eq_u64_e64 s[18:19], 0, v[4:5]
	v_min_i32_e32 v5, 15, v27
	v_cmp_eq_u32_e32 vcc, 0, v27
	v_lshlrev_b32_e32 v5, 3, v5
	v_and_or_b32 v4, v4, 7, v5
	s_and_b64 s[18:19], vcc, s[18:19]
	v_cndmask_b32_e64 v4, v4, 0, s[18:19]
	v_or_b32_e32 v27, v4, v2
.LBB4_137:                              ;   in Loop: Header=BB4_65 Depth=2
	s_or_b64 exec, exec, s[50:51]
.LBB4_138:                              ;   in Loop: Header=BB4_65 Depth=2
	s_or_b64 exec, exec, s[48:49]
                                        ; implicit-def: $vgpr4
.LBB4_139:                              ;   in Loop: Header=BB4_65 Depth=2
	s_andn2_saveexec_b64 s[18:19], s[46:47]
; %bb.140:                              ;   in Loop: Header=BB4_65 Depth=2
	v_or_b32_sdwa v2, v4, s62 dst_sel:DWORD dst_unused:UNUSED_PAD src0_sel:BYTE_3 src1_sel:DWORD
	v_cmp_eq_u64_e32 vcc, 0, v[42:43]
	v_cndmask_b32_e32 v27, v2, v27, vcc
; %bb.141:                              ;   in Loop: Header=BB4_65 Depth=2
	s_or_b64 exec, exec, s[18:19]
	v_alignbit_b32 v42, v29, v28, v9
	v_cmp_ne_u16_sdwa vcc, v42, v43 src0_sel:BYTE_0 src1_sel:DWORD
	v_mov_b32_e32 v2, 0
	s_and_saveexec_b64 s[18:19], vcc
	s_cbranch_execz .LBB4_147
; %bb.142:                              ;   in Loop: Header=BB4_65 Depth=2
	v_cmp_ne_u16_sdwa vcc, v42, s61 src0_sel:BYTE_0 src1_sel:DWORD
	v_bfrev_b32_e32 v2, 1
	s_and_saveexec_b64 s[46:47], vcc
	s_cbranch_execz .LBB4_146
; %bb.143:                              ;   in Loop: Header=BB4_65 Depth=2
	v_and_b32_e32 v4, 0x7f, v42
	v_cmp_ne_u32_e32 vcc, s62, v4
	v_mov_b32_e32 v2, 0x7f800001
	s_and_saveexec_b64 s[48:49], vcc
	s_cbranch_execz .LBB4_145
; %bb.144:                              ;   in Loop: Header=BB4_65 Depth=2
	v_and_b32_e32 v2, 7, v42
	v_ffbh_u32_e32 v2, v2
	v_min_u32_e32 v2, 32, v2
	v_subrev_u32_e32 v22, 28, v2
	v_cmp_gt_u32_e32 vcc, 8, v4
	v_lshrrev_b32_e32 v5, 3, v4
	v_sub_u32_e32 v2, 29, v2
	v_cndmask_b32_e32 v4, 0, v22, vcc
	v_cndmask_b32_e32 v2, v5, v2, vcc
	v_lshlrev_b64 v[4:5], v4, v[42:43]
	v_lshlrev_b32_e32 v4, 20, v4
	v_lshlrev_b32_e32 v5, 24, v42
	v_and_b32_e32 v4, 0x700000, v4
	v_and_b32_e32 v5, 0x80000000, v5
	v_lshl_add_u32 v2, v2, 23, v47
	v_or3_b32 v2, v5, v2, v4
.LBB4_145:                              ;   in Loop: Header=BB4_65 Depth=2
	s_or_b64 exec, exec, s[48:49]
.LBB4_146:                              ;   in Loop: Header=BB4_65 Depth=2
	s_or_b64 exec, exec, s[46:47]
.LBB4_147:                              ;   in Loop: Header=BB4_65 Depth=2
	s_or_b64 exec, exec, s[18:19]
	v_mul_f32_e32 v29, v62, v2
	v_and_b32_sdwa v2, v29, s61 dst_sel:DWORD dst_unused:UNUSED_PAD src0_sel:BYTE_3 src1_sel:DWORD
	v_and_b32_e32 v22, 0x7f800000, v29
	v_mov_b32_e32 v23, v43
	v_and_b32_e32 v4, 0x7fffff, v29
	v_mov_b32_e32 v5, v43
	v_or_b32_e32 v28, 0x7e, v2
	v_cmp_ne_u64_e32 vcc, s[36:37], v[22:23]
	s_and_saveexec_b64 s[18:19], vcc
	s_xor_b64 s[46:47], exec, s[18:19]
	s_cbranch_execz .LBB4_157
; %bb.148:                              ;   in Loop: Header=BB4_65 Depth=2
	v_and_b32_e32 v22, 0x7fffffff, v29
	v_mov_b32_e32 v23, v43
	v_cmp_gt_u64_e32 vcc, s[38:39], v[22:23]
	s_and_saveexec_b64 s[48:49], vcc
	s_cbranch_execz .LBB4_156
; %bb.149:                              ;   in Loop: Header=BB4_65 Depth=2
	v_cmp_ne_u32_e32 vcc, 0, v29
	v_mov_b32_e32 v28, 0
	s_and_saveexec_b64 s[50:51], vcc
	s_cbranch_execz .LBB4_155
; %bb.150:                              ;   in Loop: Header=BB4_65 Depth=2
	v_bfe_u32 v22, v29, 23, 8
	v_sub_u32_e32 v28, 0x79, v22
	v_cmp_gt_u32_e32 vcc, s63, v22
	v_cndmask_b32_e32 v28, 0, v28, vcc
	v_cmp_eq_u32_e32 vcc, 0, v22
	v_cndmask_b32_e32 v28, v28, v6, vcc
	v_add_u32_e32 v23, 0xffffff81, v22
	v_add_u32_e32 v22, 20, v28
	v_or_b32_e32 v29, 0x800000, v4
	v_cndmask_b32_e32 v31, v23, v30, vcc
	v_lshlrev_b64 v[22:23], v22, -1
	v_cndmask_b32_e32 v4, v29, v4, vcc
	v_not_b32_e32 v22, v22
	v_and_b32_e32 v22, v4, v22
	v_add_u32_e32 v29, 19, v28
	v_lshrrev_b64 v[4:5], v28, v[4:5]
	v_not_b32_e32 v23, v23
	v_lshlrev_b64 v[48:49], v29, 1
	v_lshrrev_b32_e32 v29, 23, v4
	v_and_b32_e32 v23, 0, v23
	v_add3_u32 v31, v28, v31, v29
	v_bfe_u32 v28, v4, 20, 1
	v_add_u32_e32 v28, -1, v28
	v_cmp_eq_u64_e32 vcc, v[22:23], v[48:49]
	v_cndmask_b32_e32 v22, 0, v28, vcc
	v_add_u32_e32 v22, v22, v4
	v_and_b32_e32 v22, 0xfffff, v22
	v_add_co_u32_e32 v4, vcc, v22, v4
	v_add_u32_e32 v29, 6, v31
	v_addc_co_u32_e32 v5, vcc, 0, v5, vcc
	v_cmp_ne_u32_e32 vcc, 0, v29
                                        ; implicit-def: $vgpr28
	s_and_saveexec_b64 s[18:19], vcc
	s_xor_b64 s[18:19], exec, s[18:19]
; %bb.151:                              ;   in Loop: Header=BB4_65 Depth=2
	v_add_u32_e32 v22, 7, v31
	v_cmp_lt_u64_e32 vcc, s[40:41], v[4:5]
	v_cndmask_b32_e32 v28, v29, v22, vcc
	v_cndmask_b32_e64 v22, 0, 1, vcc
	v_lshrrev_b64 v[4:5], v22, v[4:5]
; %bb.152:                              ;   in Loop: Header=BB4_65 Depth=2
	s_andn2_saveexec_b64 s[18:19], s[18:19]
; %bb.153:                              ;   in Loop: Header=BB4_65 Depth=2
	v_bfe_u32 v28, v4, 23, 1
; %bb.154:                              ;   in Loop: Header=BB4_65 Depth=2
	s_or_b64 exec, exec, s[18:19]
	v_lshrrev_b64 v[4:5], 20, v[4:5]
	v_cmp_gt_i32_e32 vcc, 16, v28
	v_cndmask_b32_e32 v5, 0, v5, vcc
	v_cndmask_b32_e32 v4, 7, v4, vcc
	v_cmp_eq_u64_e64 s[18:19], 0, v[4:5]
	v_min_i32_e32 v5, 15, v28
	v_cmp_eq_u32_e32 vcc, 0, v28
	v_lshlrev_b32_e32 v5, 3, v5
	v_and_or_b32 v4, v4, 7, v5
	s_and_b64 s[18:19], vcc, s[18:19]
	v_cndmask_b32_e64 v4, v4, 0, s[18:19]
	v_or_b32_e32 v28, v4, v2
.LBB4_155:                              ;   in Loop: Header=BB4_65 Depth=2
	s_or_b64 exec, exec, s[50:51]
.LBB4_156:                              ;   in Loop: Header=BB4_65 Depth=2
	s_or_b64 exec, exec, s[48:49]
                                        ; implicit-def: $vgpr29
                                        ; implicit-def: $vgpr4_vgpr5
.LBB4_157:                              ;   in Loop: Header=BB4_65 Depth=2
	s_andn2_saveexec_b64 s[18:19], s[46:47]
; %bb.158:                              ;   in Loop: Header=BB4_65 Depth=2
	v_or_b32_sdwa v2, v29, s62 dst_sel:DWORD dst_unused:UNUSED_PAD src0_sel:BYTE_3 src1_sel:DWORD
	v_cmp_eq_u64_e32 vcc, 0, v[4:5]
	v_cndmask_b32_e32 v28, v2, v28, vcc
; %bb.159:                              ;   in Loop: Header=BB4_65 Depth=2
	s_or_b64 exec, exec, s[18:19]
	v_lshrrev_b16_e32 v2, 8, v42
	v_cmp_ne_u16_e32 vcc, 0, v2
	v_mov_b32_e32 v4, 0
	s_and_saveexec_b64 s[18:19], vcc
	s_cbranch_execz .LBB4_165
; %bb.160:                              ;   in Loop: Header=BB4_65 Depth=2
	v_cmp_ne_u16_e32 vcc, s61, v2
	v_bfrev_b32_e32 v4, 1
	s_and_saveexec_b64 s[46:47], vcc
	s_cbranch_execz .LBB4_164
; %bb.161:                              ;   in Loop: Header=BB4_65 Depth=2
	v_and_b32_e32 v5, 0x7f, v2
	v_cmp_ne_u32_e32 vcc, s62, v5
	v_mov_b32_e32 v4, 0x7f800001
	s_and_saveexec_b64 s[48:49], vcc
	s_cbranch_execz .LBB4_163
; %bb.162:                              ;   in Loop: Header=BB4_65 Depth=2
	v_and_b32_e32 v4, 7, v2
	v_ffbh_u32_e32 v22, v4
	v_min_u32_e32 v31, 32, v22
	v_subrev_u32_e32 v22, 28, v31
	v_lshlrev_b64 v[22:23], v22, v[2:3]
	v_lshrrev_b32_e32 v29, 3, v5
	v_sub_u32_e32 v2, 29, v31
	v_and_b32_e32 v22, 7, v22
	v_cmp_gt_u32_e32 vcc, 8, v5
	v_cndmask_b32_e32 v2, v29, v2, vcc
	v_cndmask_b32_e32 v4, v4, v22, vcc
	v_lshlrev_b32_e32 v5, 16, v42
	v_lshlrev_b32_e32 v4, 20, v4
	v_and_b32_e32 v5, 0x80000000, v5
	v_lshl_add_u32 v2, v2, 23, v47
	v_or3_b32 v4, v5, v2, v4
.LBB4_163:                              ;   in Loop: Header=BB4_65 Depth=2
	s_or_b64 exec, exec, s[48:49]
.LBB4_164:                              ;   in Loop: Header=BB4_65 Depth=2
	s_or_b64 exec, exec, s[46:47]
.LBB4_165:                              ;   in Loop: Header=BB4_65 Depth=2
	s_or_b64 exec, exec, s[18:19]
	v_mul_f32_e32 v31, v62, v4
	v_and_b32_sdwa v2, v31, s61 dst_sel:DWORD dst_unused:UNUSED_PAD src0_sel:BYTE_3 src1_sel:DWORD
	v_and_b32_e32 v22, 0x7f800000, v31
	v_mov_b32_e32 v23, v43
	v_and_b32_e32 v4, 0x7fffff, v31
	v_mov_b32_e32 v5, v43
	v_or_b32_e32 v29, 0x7e, v2
	v_cmp_ne_u64_e32 vcc, s[36:37], v[22:23]
	s_and_saveexec_b64 s[18:19], vcc
	s_xor_b64 s[46:47], exec, s[18:19]
	s_cbranch_execz .LBB4_175
; %bb.166:                              ;   in Loop: Header=BB4_65 Depth=2
	v_and_b32_e32 v22, 0x7fffffff, v31
	v_mov_b32_e32 v23, v43
	v_cmp_gt_u64_e32 vcc, s[38:39], v[22:23]
	s_and_saveexec_b64 s[48:49], vcc
	s_cbranch_execz .LBB4_174
; %bb.167:                              ;   in Loop: Header=BB4_65 Depth=2
	v_cmp_ne_u32_e32 vcc, 0, v31
	v_mov_b32_e32 v29, 0
	s_and_saveexec_b64 s[50:51], vcc
	s_cbranch_execz .LBB4_173
; %bb.168:                              ;   in Loop: Header=BB4_65 Depth=2
	v_bfe_u32 v22, v31, 23, 8
	v_sub_u32_e32 v29, 0x79, v22
	v_cmp_gt_u32_e32 vcc, s63, v22
	v_cndmask_b32_e32 v29, 0, v29, vcc
	v_cmp_eq_u32_e32 vcc, 0, v22
	v_cndmask_b32_e32 v29, v29, v6, vcc
	v_add_u32_e32 v23, 0xffffff81, v22
	v_add_u32_e32 v22, 20, v29
	v_or_b32_e32 v31, 0x800000, v4
	v_cndmask_b32_e32 v33, v23, v30, vcc
	v_lshlrev_b64 v[22:23], v22, -1
	v_cndmask_b32_e32 v4, v31, v4, vcc
	v_not_b32_e32 v22, v22
	v_and_b32_e32 v22, v4, v22
	v_add_u32_e32 v31, 19, v29
	v_lshrrev_b64 v[4:5], v29, v[4:5]
	v_not_b32_e32 v23, v23
	v_lshlrev_b64 v[48:49], v31, 1
	v_lshrrev_b32_e32 v31, 23, v4
	v_and_b32_e32 v23, 0, v23
	v_add3_u32 v33, v29, v33, v31
	v_bfe_u32 v29, v4, 20, 1
	v_add_u32_e32 v29, -1, v29
	v_cmp_eq_u64_e32 vcc, v[22:23], v[48:49]
	v_cndmask_b32_e32 v22, 0, v29, vcc
	v_add_u32_e32 v22, v22, v4
	v_and_b32_e32 v22, 0xfffff, v22
	v_add_co_u32_e32 v4, vcc, v22, v4
	v_add_u32_e32 v31, 6, v33
	v_addc_co_u32_e32 v5, vcc, 0, v5, vcc
	v_cmp_ne_u32_e32 vcc, 0, v31
                                        ; implicit-def: $vgpr29
	s_and_saveexec_b64 s[18:19], vcc
	s_xor_b64 s[18:19], exec, s[18:19]
; %bb.169:                              ;   in Loop: Header=BB4_65 Depth=2
	v_add_u32_e32 v22, 7, v33
	v_cmp_lt_u64_e32 vcc, s[40:41], v[4:5]
	v_cndmask_b32_e32 v29, v31, v22, vcc
	v_cndmask_b32_e64 v22, 0, 1, vcc
	v_lshrrev_b64 v[4:5], v22, v[4:5]
; %bb.170:                              ;   in Loop: Header=BB4_65 Depth=2
	s_andn2_saveexec_b64 s[18:19], s[18:19]
; %bb.171:                              ;   in Loop: Header=BB4_65 Depth=2
	v_bfe_u32 v29, v4, 23, 1
; %bb.172:                              ;   in Loop: Header=BB4_65 Depth=2
	s_or_b64 exec, exec, s[18:19]
	v_lshrrev_b64 v[4:5], 20, v[4:5]
	v_cmp_gt_i32_e32 vcc, 16, v29
	v_cndmask_b32_e32 v5, 0, v5, vcc
	v_cndmask_b32_e32 v4, 7, v4, vcc
	v_cmp_eq_u64_e64 s[18:19], 0, v[4:5]
	v_min_i32_e32 v5, 15, v29
	v_lshlrev_b32_e32 v5, 3, v5
	v_cmp_eq_u32_e32 vcc, 0, v29
	v_and_b32_e32 v5, 0xf8, v5
	v_and_or_b32 v4, v4, 7, v5
	s_and_b64 s[18:19], vcc, s[18:19]
	v_cndmask_b32_e64 v4, v4, 0, s[18:19]
	v_or_b32_e32 v29, v4, v2
.LBB4_173:                              ;   in Loop: Header=BB4_65 Depth=2
	s_or_b64 exec, exec, s[50:51]
.LBB4_174:                              ;   in Loop: Header=BB4_65 Depth=2
	s_or_b64 exec, exec, s[48:49]
                                        ; implicit-def: $vgpr31
                                        ; implicit-def: $vgpr4_vgpr5
.LBB4_175:                              ;   in Loop: Header=BB4_65 Depth=2
	s_andn2_saveexec_b64 s[18:19], s[46:47]
; %bb.176:                              ;   in Loop: Header=BB4_65 Depth=2
	v_or_b32_sdwa v2, v31, s62 dst_sel:DWORD dst_unused:UNUSED_PAD src0_sel:BYTE_3 src1_sel:DWORD
	v_cmp_eq_u64_e32 vcc, 0, v[4:5]
	v_cndmask_b32_e32 v29, v2, v29, vcc
; %bb.177:                              ;   in Loop: Header=BB4_65 Depth=2
	s_or_b64 exec, exec, s[18:19]
	v_and_b32_sdwa v5, v42, s60 dst_sel:DWORD dst_unused:UNUSED_PAD src0_sel:WORD_1 src1_sel:DWORD
	v_lshrrev_b32_e32 v2, 16, v42
	v_cmp_ne_u16_e32 vcc, 0, v5
	v_mov_b32_e32 v4, 0
	s_and_saveexec_b64 s[18:19], vcc
	s_cbranch_execz .LBB4_183
; %bb.178:                              ;   in Loop: Header=BB4_65 Depth=2
	v_cmp_ne_u16_e32 vcc, s61, v5
	v_bfrev_b32_e32 v4, 1
	s_and_saveexec_b64 s[46:47], vcc
	s_cbranch_execz .LBB4_182
; %bb.179:                              ;   in Loop: Header=BB4_65 Depth=2
	v_bfe_u32 v5, v42, 16, 7
	v_cmp_ne_u32_e32 vcc, s62, v5
	v_mov_b32_e32 v4, 0x7f800001
	s_and_saveexec_b64 s[48:49], vcc
	s_cbranch_execz .LBB4_181
; %bb.180:                              ;   in Loop: Header=BB4_65 Depth=2
	v_and_b32_e32 v4, 7, v2
	v_ffbh_u32_e32 v22, v4
	v_min_u32_e32 v33, 32, v22
	v_subrev_u32_e32 v22, 28, v33
	v_lshlrev_b64 v[22:23], v22, v[2:3]
	v_lshrrev_b32_e32 v31, 3, v5
	v_sub_u32_e32 v2, 29, v33
	v_and_b32_e32 v22, 7, v22
	v_cmp_gt_u32_e32 vcc, 8, v5
	v_cndmask_b32_e32 v2, v31, v2, vcc
	v_cndmask_b32_e32 v4, v4, v22, vcc
	v_lshlrev_b32_sdwa v5, v7, v42 dst_sel:DWORD dst_unused:UNUSED_PAD src0_sel:DWORD src1_sel:WORD_1
	v_lshlrev_b32_e32 v4, 20, v4
	v_and_b32_e32 v5, 0x80000000, v5
	v_lshl_add_u32 v2, v2, 23, v47
	v_or3_b32 v4, v5, v2, v4
.LBB4_181:                              ;   in Loop: Header=BB4_65 Depth=2
	s_or_b64 exec, exec, s[48:49]
.LBB4_182:                              ;   in Loop: Header=BB4_65 Depth=2
	s_or_b64 exec, exec, s[46:47]
.LBB4_183:                              ;   in Loop: Header=BB4_65 Depth=2
	s_or_b64 exec, exec, s[18:19]
	v_mul_f32_e32 v33, v62, v4
	v_and_b32_sdwa v2, v33, s61 dst_sel:DWORD dst_unused:UNUSED_PAD src0_sel:BYTE_3 src1_sel:DWORD
	v_and_b32_e32 v22, 0x7f800000, v33
	v_mov_b32_e32 v23, v43
	v_and_b32_e32 v4, 0x7fffff, v33
	v_mov_b32_e32 v5, v43
	v_or_b32_e32 v31, 0x7e, v2
	v_cmp_ne_u64_e32 vcc, s[36:37], v[22:23]
	s_and_saveexec_b64 s[18:19], vcc
	s_xor_b64 s[46:47], exec, s[18:19]
	s_cbranch_execz .LBB4_193
; %bb.184:                              ;   in Loop: Header=BB4_65 Depth=2
	v_and_b32_e32 v22, 0x7fffffff, v33
	v_mov_b32_e32 v23, v43
	v_cmp_gt_u64_e32 vcc, s[38:39], v[22:23]
	s_and_saveexec_b64 s[48:49], vcc
	s_cbranch_execz .LBB4_192
; %bb.185:                              ;   in Loop: Header=BB4_65 Depth=2
	v_cmp_ne_u32_e32 vcc, 0, v33
	v_mov_b32_e32 v31, 0
	s_and_saveexec_b64 s[50:51], vcc
	s_cbranch_execz .LBB4_191
; %bb.186:                              ;   in Loop: Header=BB4_65 Depth=2
	v_bfe_u32 v22, v33, 23, 8
	v_sub_u32_e32 v31, 0x79, v22
	v_cmp_gt_u32_e32 vcc, s63, v22
	v_cndmask_b32_e32 v31, 0, v31, vcc
	v_cmp_eq_u32_e32 vcc, 0, v22
	v_cndmask_b32_e32 v31, v31, v6, vcc
	v_add_u32_e32 v23, 0xffffff81, v22
	v_add_u32_e32 v22, 20, v31
	v_or_b32_e32 v33, 0x800000, v4
	v_cndmask_b32_e32 v36, v23, v30, vcc
	v_lshlrev_b64 v[22:23], v22, -1
	v_cndmask_b32_e32 v4, v33, v4, vcc
	v_not_b32_e32 v22, v22
	v_and_b32_e32 v22, v4, v22
	v_add_u32_e32 v33, 19, v31
	v_lshrrev_b64 v[4:5], v31, v[4:5]
	v_not_b32_e32 v23, v23
	v_lshlrev_b64 v[60:61], v33, 1
	v_lshrrev_b32_e32 v33, 23, v4
	v_and_b32_e32 v23, 0, v23
	v_add3_u32 v48, v31, v36, v33
	v_bfe_u32 v31, v4, 20, 1
	v_add_u32_e32 v31, -1, v31
	v_cmp_eq_u64_e32 vcc, v[22:23], v[60:61]
	v_cndmask_b32_e32 v22, 0, v31, vcc
	v_add_u32_e32 v22, v22, v4
	v_and_b32_e32 v22, 0xfffff, v22
	v_add_co_u32_e32 v4, vcc, v22, v4
	v_add_u32_e32 v33, 6, v48
	v_addc_co_u32_e32 v5, vcc, 0, v5, vcc
	v_cmp_ne_u32_e32 vcc, 0, v33
                                        ; implicit-def: $vgpr31
	s_and_saveexec_b64 s[18:19], vcc
	s_xor_b64 s[18:19], exec, s[18:19]
; %bb.187:                              ;   in Loop: Header=BB4_65 Depth=2
	v_add_u32_e32 v22, 7, v48
	v_cmp_lt_u64_e32 vcc, s[40:41], v[4:5]
	v_cndmask_b32_e32 v31, v33, v22, vcc
	v_cndmask_b32_e64 v22, 0, 1, vcc
	v_lshrrev_b64 v[4:5], v22, v[4:5]
; %bb.188:                              ;   in Loop: Header=BB4_65 Depth=2
	s_andn2_saveexec_b64 s[18:19], s[18:19]
; %bb.189:                              ;   in Loop: Header=BB4_65 Depth=2
	v_bfe_u32 v31, v4, 23, 1
; %bb.190:                              ;   in Loop: Header=BB4_65 Depth=2
	s_or_b64 exec, exec, s[18:19]
	v_lshrrev_b64 v[4:5], 20, v[4:5]
	v_cmp_gt_i32_e32 vcc, 16, v31
	v_cndmask_b32_e32 v5, 0, v5, vcc
	v_cndmask_b32_e32 v4, 7, v4, vcc
	v_cmp_eq_u64_e64 s[18:19], 0, v[4:5]
	v_min_i32_e32 v5, 15, v31
	v_lshlrev_b32_e32 v5, 3, v5
	v_cmp_eq_u32_e32 vcc, 0, v31
	v_and_b32_e32 v5, 0xf8, v5
	v_and_or_b32 v4, v4, 7, v5
	s_and_b64 s[18:19], vcc, s[18:19]
	v_cndmask_b32_e64 v4, v4, 0, s[18:19]
	v_or_b32_e32 v31, v4, v2
.LBB4_191:                              ;   in Loop: Header=BB4_65 Depth=2
	s_or_b64 exec, exec, s[50:51]
.LBB4_192:                              ;   in Loop: Header=BB4_65 Depth=2
	s_or_b64 exec, exec, s[48:49]
                                        ; implicit-def: $vgpr33
                                        ; implicit-def: $vgpr4_vgpr5
.LBB4_193:                              ;   in Loop: Header=BB4_65 Depth=2
	s_andn2_saveexec_b64 s[18:19], s[46:47]
; %bb.194:                              ;   in Loop: Header=BB4_65 Depth=2
	v_or_b32_sdwa v2, v33, s62 dst_sel:DWORD dst_unused:UNUSED_PAD src0_sel:BYTE_3 src1_sel:DWORD
	v_cmp_eq_u64_e32 vcc, 0, v[4:5]
	v_cndmask_b32_e32 v31, v2, v31, vcc
; %bb.195:                              ;   in Loop: Header=BB4_65 Depth=2
	s_or_b64 exec, exec, s[18:19]
	v_cmp_lt_u32_e32 vcc, s64, v42
	v_mov_b32_e32 v4, 0
	s_and_saveexec_b64 s[18:19], vcc
	s_cbranch_execz .LBB4_201
; %bb.196:                              ;   in Loop: Header=BB4_65 Depth=2
	v_lshrrev_b32_e32 v2, 24, v42
	v_cmp_ne_u32_sdwa vcc, v42, s61 src0_sel:BYTE_3 src1_sel:DWORD
	v_bfrev_b32_e32 v4, 1
	s_and_saveexec_b64 s[46:47], vcc
	s_cbranch_execz .LBB4_200
; %bb.197:                              ;   in Loop: Header=BB4_65 Depth=2
	v_bfe_u32 v5, v42, 24, 7
	v_cmp_ne_u32_e32 vcc, s62, v5
	v_mov_b32_e32 v4, 0x7f800001
	s_and_saveexec_b64 s[48:49], vcc
	s_cbranch_execz .LBB4_199
; %bb.198:                              ;   in Loop: Header=BB4_65 Depth=2
	v_and_b32_e32 v4, 7, v2
	v_ffbh_u32_e32 v22, v4
	v_min_u32_e32 v36, 32, v22
	v_subrev_u32_e32 v22, 28, v36
	v_lshlrev_b64 v[22:23], v22, v[2:3]
	v_lshrrev_b32_e32 v33, 3, v5
	v_sub_u32_e32 v2, 29, v36
	v_and_b32_e32 v22, 7, v22
	v_cmp_gt_u32_e32 vcc, 8, v5
	v_cndmask_b32_e32 v2, v33, v2, vcc
	v_cndmask_b32_e32 v4, v4, v22, vcc
	v_lshlrev_b32_sdwa v5, v7, v42 dst_sel:DWORD dst_unused:UNUSED_PAD src0_sel:DWORD src1_sel:BYTE_3
	v_lshlrev_b32_e32 v4, 20, v4
	v_and_b32_e32 v5, 0x80000000, v5
	v_lshl_add_u32 v2, v2, 23, v47
	v_or3_b32 v4, v5, v2, v4
.LBB4_199:                              ;   in Loop: Header=BB4_65 Depth=2
	s_or_b64 exec, exec, s[48:49]
.LBB4_200:                              ;   in Loop: Header=BB4_65 Depth=2
	s_or_b64 exec, exec, s[46:47]
.LBB4_201:                              ;   in Loop: Header=BB4_65 Depth=2
	s_or_b64 exec, exec, s[18:19]
	v_mul_f32_e32 v5, v62, v4
	v_and_b32_sdwa v2, v5, s61 dst_sel:DWORD dst_unused:UNUSED_PAD src0_sel:BYTE_3 src1_sel:DWORD
	v_and_b32_e32 v22, 0x7f800000, v5
	v_mov_b32_e32 v23, v43
	v_and_b32_e32 v42, 0x7fffff, v5
	v_or_b32_e32 v4, 0x7e, v2
	v_cmp_ne_u64_e32 vcc, s[36:37], v[22:23]
	s_and_saveexec_b64 s[18:19], vcc
	s_xor_b64 s[46:47], exec, s[18:19]
	s_cbranch_execz .LBB4_211
; %bb.202:                              ;   in Loop: Header=BB4_65 Depth=2
	v_and_b32_e32 v22, 0x7fffffff, v5
	v_mov_b32_e32 v23, v43
	v_cmp_gt_u64_e32 vcc, s[38:39], v[22:23]
	s_and_saveexec_b64 s[48:49], vcc
	s_cbranch_execz .LBB4_210
; %bb.203:                              ;   in Loop: Header=BB4_65 Depth=2
	v_cmp_ne_u32_e32 vcc, 0, v5
	v_mov_b32_e32 v4, 0
	s_and_saveexec_b64 s[50:51], vcc
	s_cbranch_execz .LBB4_209
; %bb.204:                              ;   in Loop: Header=BB4_65 Depth=2
	v_bfe_u32 v4, v5, 23, 8
	v_sub_u32_e32 v22, 0x79, v4
	v_cmp_gt_u32_e32 vcc, s63, v4
	v_cndmask_b32_e32 v22, 0, v22, vcc
	v_cmp_eq_u32_e32 vcc, 0, v4
	v_or_b32_e32 v23, 0x800000, v42
	v_cndmask_b32_e32 v36, v22, v6, vcc
	v_add_u32_e32 v5, 0xffffff81, v4
	v_cndmask_b32_e32 v42, v23, v42, vcc
	v_add_u32_e32 v4, 20, v36
	v_cndmask_b32_e32 v33, v5, v30, vcc
	v_lshlrev_b64 v[4:5], v4, -1
	v_lshrrev_b64 v[60:61], v36, v[42:43]
	v_not_b32_e32 v5, v5
	v_not_b32_e32 v4, v4
	v_add_u32_e32 v22, 19, v36
	v_lshrrev_b32_e32 v37, 23, v60
	v_and_b32_e32 v5, 0, v5
	v_and_b32_e32 v4, v42, v4
	v_lshlrev_b64 v[22:23], v22, 1
	v_add3_u32 v49, v36, v33, v37
	v_bfe_u32 v33, v60, 20, 1
	v_add_u32_e32 v33, -1, v33
	v_cmp_eq_u64_e32 vcc, v[4:5], v[22:23]
	v_cndmask_b32_e32 v4, 0, v33, vcc
	v_add_u32_e32 v4, v4, v60
	v_and_b32_e32 v4, 0xfffff, v4
	v_add_co_u32_e32 v4, vcc, v4, v60
	v_add_u32_e32 v48, 6, v49
	v_addc_co_u32_e32 v5, vcc, 0, v61, vcc
	v_cmp_ne_u32_e32 vcc, 0, v48
                                        ; implicit-def: $vgpr33
	s_and_saveexec_b64 s[18:19], vcc
	s_xor_b64 s[18:19], exec, s[18:19]
; %bb.205:                              ;   in Loop: Header=BB4_65 Depth=2
	v_add_u32_e32 v22, 7, v49
	v_cmp_lt_u64_e32 vcc, s[40:41], v[4:5]
	v_cndmask_b32_e32 v33, v48, v22, vcc
	v_cndmask_b32_e64 v22, 0, 1, vcc
	v_lshrrev_b64 v[4:5], v22, v[4:5]
; %bb.206:                              ;   in Loop: Header=BB4_65 Depth=2
	s_andn2_saveexec_b64 s[18:19], s[18:19]
; %bb.207:                              ;   in Loop: Header=BB4_65 Depth=2
	v_bfe_u32 v33, v4, 23, 1
; %bb.208:                              ;   in Loop: Header=BB4_65 Depth=2
	s_or_b64 exec, exec, s[18:19]
	v_lshrrev_b64 v[4:5], 20, v[4:5]
	v_cmp_gt_i32_e32 vcc, 16, v33
	v_cndmask_b32_e32 v5, 0, v5, vcc
	v_cndmask_b32_e32 v4, 7, v4, vcc
	v_cmp_eq_u64_e64 s[18:19], 0, v[4:5]
	v_min_i32_e32 v5, 15, v33
	v_lshlrev_b32_e32 v5, 3, v5
	v_cmp_eq_u32_e32 vcc, 0, v33
	v_and_b32_e32 v5, 0xf8, v5
	v_and_or_b32 v4, v4, 7, v5
	s_and_b64 s[18:19], vcc, s[18:19]
	v_cndmask_b32_e64 v4, v4, 0, s[18:19]
	v_or_b32_e32 v4, v4, v2
.LBB4_209:                              ;   in Loop: Header=BB4_65 Depth=2
	s_or_b64 exec, exec, s[50:51]
.LBB4_210:                              ;   in Loop: Header=BB4_65 Depth=2
	s_or_b64 exec, exec, s[48:49]
                                        ; implicit-def: $vgpr5
.LBB4_211:                              ;   in Loop: Header=BB4_65 Depth=2
	s_andn2_saveexec_b64 s[18:19], s[46:47]
	s_cbranch_execz .LBB4_64
; %bb.212:                              ;   in Loop: Header=BB4_65 Depth=2
	v_or_b32_sdwa v2, v5, s62 dst_sel:DWORD dst_unused:UNUSED_PAD src0_sel:BYTE_3 src1_sel:DWORD
	v_cmp_eq_u64_e32 vcc, 0, v[42:43]
	v_cndmask_b32_e32 v4, v2, v4, vcc
	s_branch .LBB4_64
.LBB4_213:                              ;   in Loop: Header=BB4_27 Depth=1
	s_or_b64 exec, exec, s[44:45]
	v_accvgpr_read_b32 v8, a44
	v_accvgpr_read_b32 v9, a45
.LBB4_214:                              ;   in Loop: Header=BB4_27 Depth=1
	s_or_b64 exec, exec, s[42:43]
	v_and_b32_e32 v42, 0x7ffffff8, v16
	v_cmp_eq_u64_e32 vcc, s[34:35], v[42:43]
	v_cmp_gt_i32_e64 s[18:19], s58, v0
	s_and_b64 s[18:19], vcc, s[18:19]
	s_and_saveexec_b64 s[42:43], s[18:19]
	s_cbranch_execz .LBB4_217
; %bb.215:                              ;   in Loop: Header=BB4_27 Depth=1
	v_mul_lo_u32 v4, v1, s58
	v_mov_b32_e32 v1, v16
	s_waitcnt vmcnt(0) lgkmcnt(0)
	v_add_co_u32_e64 v2, vcc, 0, 0
	v_ashrrev_i32_e32 v5, 31, v4
	v_addc_co_u32_e32 v3, vcc, 1, v1, vcc
	v_ashrrev_i32_e32 v1, 31, v0
	v_lshlrev_b64 v[8:9], 4, v[0:1]
	v_lshlrev_b64 v[4:5], 4, v[4:5]
	v_add_co_u32_e32 v1, vcc, v8, v4
	v_addc_co_u32_e32 v4, vcc, v9, v5, vcc
	v_accvgpr_read_b32 v8, a20
	v_accvgpr_read_b32 v9, a21
	v_add_co_u32_e32 v10, vcc, v8, v1
	v_addc_co_u32_e32 v11, vcc, v9, v4, vcc
	v_accvgpr_read_b32 v8, a44
	v_accvgpr_read_b32 v9, a45
	s_mov_b64 s[44:45], 0
.LBB4_216:                              ;   Parent Loop BB4_27 Depth=1
                                        ; =>  This Inner Loop Header: Depth=2
	v_mov_b32_e32 v4, v2
	v_mov_b32_e32 v5, v3
	v_add_u32_e32 v0, v0, v20
	global_store_dwordx4 v[10:11], v[2:5], off
	v_cmp_le_i32_e32 vcc, s58, v0
	v_add_co_u32_e64 v10, s[18:19], v10, v58
	s_or_b64 s[44:45], vcc, s[44:45]
	v_addc_co_u32_e64 v11, vcc, v11, v59, s[18:19]
	s_andn2_b64 exec, exec, s[44:45]
	s_cbranch_execnz .LBB4_216
.LBB4_217:                              ;   in Loop: Header=BB4_27 Depth=1
	s_or_b64 exec, exec, s[42:43]
	v_accvgpr_read_b32 v0, a8
	v_accvgpr_read_b32 v1, a9
	v_add_co_u32_e32 v4, vcc, v8, v0
	v_addc_co_u32_e32 v5, vcc, v9, v1, vcc
	v_add_co_u32_e64 v28, s[18:19], 1, v16
	s_andn2_b64 vcc, exec, s[30:31]
	v_addc_co_u32_e64 v29, s[18:19], 0, v17, s[18:19]
	s_cbranch_vccnz .LBB4_635
; %bb.218:                              ;   in Loop: Header=BB4_27 Depth=1
	v_accvgpr_read_b32 v0, a35
	s_waitcnt vmcnt(0) lgkmcnt(0)
	v_add_co_u32_e32 v2, vcc, v0, v4
	v_accvgpr_read_b32 v0, a36
	v_addc_co_u32_e32 v3, vcc, v0, v5, vcc
	v_accvgpr_write_b32 a51, v3
	v_accvgpr_write_b32 a47, v4
	;; [unrolled: 1-line block ×4, first 2 shown]
	v_add_u16_e32 v41, 1, v16
	s_mov_b32 s70, 2
	s_branch .LBB4_220
.LBB4_219:                              ;   in Loop: Header=BB4_220 Depth=2
	s_or_b64 exec, exec, s[42:43]
	v_add_co_u32_e32 v34, vcc, 1, v34
	v_addc_co_u32_e32 v35, vcc, 0, v35, vcc
	s_add_i32 s70, s70, 1
	v_add_co_u32_e32 v28, vcc, 1, v28
	v_addc_co_u32_e32 v29, vcc, 0, v29, vcc
	s_cmp_eq_u32 s70, s20
	v_add_u16_e32 v41, 1, v41
	s_cbranch_scc1 .LBB4_636
.LBB4_220:                              ;   Parent Loop BB4_27 Depth=1
                                        ; =>  This Loop Header: Depth=2
                                        ;       Child Loop BB4_235 Depth 3
                                        ;       Child Loop BB4_251 Depth 3
	;; [unrolled: 1-line block ×3, first 2 shown]
                                        ;         Child Loop BB4_272 Depth 4
                                        ;       Child Loop BB4_624 Depth 3
                                        ;       Child Loop BB4_228 Depth 3
	s_sub_i32 s18, s20, s70
	s_ashr_i32 s19, s18, 31
	s_lshl_b64 s[18:19], s[18:19], 2
	s_waitcnt vmcnt(0) lgkmcnt(0)
	v_accvgpr_read_b32 v2, a6
	v_mov_b32_e32 v1, s19
	v_accvgpr_read_b32 v3, a7
	v_add_co_u32_e32 v0, vcc, s18, v2
	v_addc_co_u32_e32 v1, vcc, v3, v1, vcc
	flat_load_dword v2, v[0:1]
	s_and_saveexec_b64 s[18:19], s[6:7]
	s_cbranch_execnz .LBB4_229
; %bb.221:                              ;   in Loop: Header=BB4_220 Depth=2
	s_or_b64 exec, exec, s[18:19]
	s_and_saveexec_b64 s[18:19], s[10:11]
	s_cbranch_execnz .LBB4_244
.LBB4_222:                              ;   in Loop: Header=BB4_220 Depth=2
	s_or_b64 exec, exec, s[18:19]
	v_accvgpr_read_b32 v0, a2
	s_and_saveexec_b64 s[42:43], s[16:17]
	s_cbranch_execnz .LBB4_262
.LBB4_223:                              ;   in Loop: Header=BB4_220 Depth=2
	s_or_b64 exec, exec, s[42:43]
	s_and_saveexec_b64 s[18:19], s[10:11]
	s_cbranch_execnz .LBB4_617
.LBB4_224:                              ;   in Loop: Header=BB4_220 Depth=2
	s_or_b64 exec, exec, s[18:19]
	s_and_saveexec_b64 s[18:19], s[14:15]
	s_cbranch_execz .LBB4_226
.LBB4_225:                              ;   in Loop: Header=BB4_220 Depth=2
	s_waitcnt vmcnt(0) lgkmcnt(0)
	v_accvgpr_read_b32 v2, a22
	v_accvgpr_read_b32 v3, a23
	v_add_co_u32_e32 v2, vcc, 1, v2
	v_addc_co_u32_e32 v3, vcc, 0, v3, vcc
	v_accvgpr_write_b32 a23, v3
	v_accvgpr_read_b32 v4, a24
	v_accvgpr_write_b32 a22, v2
	v_accvgpr_read_b32 v5, a25
	flat_store_dwordx2 v[4:5], v[2:3]
.LBB4_226:                              ;   in Loop: Header=BB4_220 Depth=2
	s_or_b64 exec, exec, s[18:19]
	v_and_b32_e32 v42, 0x7ffffff8, v28
	v_cmp_eq_u64_e32 vcc, s[34:35], v[42:43]
	v_cmp_gt_i32_e64 s[18:19], s58, v0
	s_and_b64 s[18:19], vcc, s[18:19]
	s_and_saveexec_b64 s[42:43], s[18:19]
	s_cbranch_execz .LBB4_219
; %bb.227:                              ;   in Loop: Header=BB4_220 Depth=2
	v_and_b32_e32 v1, 7, v41
	s_waitcnt vmcnt(0) lgkmcnt(0)
	v_mul_lo_u32 v2, s58, v1
	v_ashrrev_i32_e32 v3, 31, v2
	v_lshlrev_b64 v[4:5], 4, v[2:3]
	v_mov_b32_e32 v1, v28
	v_add_co_u32_e64 v2, vcc, 0, 0
	v_addc_co_u32_e32 v3, vcc, 1, v1, vcc
	v_ashrrev_i32_e32 v1, 31, v0
	v_lshlrev_b64 v[8:9], 4, v[0:1]
	v_add_co_u32_e32 v1, vcc, v8, v4
	v_addc_co_u32_e32 v4, vcc, v9, v5, vcc
	v_accvgpr_read_b32 v8, a20
	v_accvgpr_read_b32 v9, a21
	v_add_co_u32_e32 v10, vcc, v8, v1
	v_addc_co_u32_e32 v11, vcc, v9, v4, vcc
	v_accvgpr_read_b32 v8, a44
	v_accvgpr_read_b32 v9, a45
	s_mov_b64 s[44:45], 0
.LBB4_228:                              ;   Parent Loop BB4_27 Depth=1
                                        ;     Parent Loop BB4_220 Depth=2
                                        ; =>    This Inner Loop Header: Depth=3
	v_mov_b32_e32 v4, v2
	v_mov_b32_e32 v5, v3
	v_add_u32_e32 v0, v0, v20
	global_store_dwordx4 v[10:11], v[2:5], off
	v_cmp_le_i32_e32 vcc, s58, v0
	v_add_co_u32_e64 v10, s[18:19], v10, v58
	s_or_b64 s[44:45], vcc, s[44:45]
	v_addc_co_u32_e64 v11, vcc, v11, v59, s[18:19]
	s_andn2_b64 exec, exec, s[44:45]
	s_cbranch_execnz .LBB4_228
	s_branch .LBB4_219
.LBB4_229:                              ;   in Loop: Header=BB4_220 Depth=2
	v_add_co_u32_e32 v0, vcc, 1, v14
	v_addc_co_u32_e32 v1, vcc, 0, v15, vcc
	v_add_co_u32_e32 v4, vcc, 8, v52
	v_addc_co_u32_e32 v5, vcc, 0, v53, vcc
	v_cmp_lt_u64_e32 vcc, v[4:5], v[0:1]
	s_and_saveexec_b64 s[42:43], vcc
	s_cbranch_execz .LBB4_241
; %bb.230:                              ;   in Loop: Header=BB4_220 Depth=2
	v_accvgpr_read_b32 v4, a26
	v_accvgpr_read_b32 v5, a27
	s_sleep 1
	flat_load_dwordx2 v[52:53], v[4:5] glc
	v_cmp_eq_u32_e32 vcc, 0, v40
	s_and_saveexec_b64 s[44:45], vcc
	s_cbranch_execz .LBB4_240
; %bb.231:                              ;   in Loop: Header=BB4_220 Depth=2
	v_cndmask_b32_e64 v3, 0, 1, vcc
	s_mov_b64 s[46:47], 0
                                        ; implicit-def: $sgpr48_sgpr49
	s_branch .LBB4_235
.LBB4_232:                              ;   in Loop: Header=BB4_235 Depth=3
	s_or_b64 exec, exec, s[56:57]
	s_orn2_b64 s[54:55], s[54:55], exec
.LBB4_233:                              ;   in Loop: Header=BB4_235 Depth=3
	s_or_b64 exec, exec, s[52:53]
	s_xor_b64 vcc, s[54:55], -1
	s_andn2_b64 s[48:49], s[48:49], exec
	s_and_b64 vcc, vcc, exec
	s_or_b64 s[48:49], s[48:49], vcc
.LBB4_234:                              ;   in Loop: Header=BB4_235 Depth=3
	s_or_b64 exec, exec, s[50:51]
	s_and_b64 vcc, exec, s[48:49]
	s_or_b64 s[46:47], vcc, s[46:47]
	s_andn2_b64 exec, exec, s[46:47]
	s_cbranch_execz .LBB4_239
.LBB4_235:                              ;   Parent Loop BB4_27 Depth=1
                                        ;     Parent Loop BB4_220 Depth=2
                                        ; =>    This Inner Loop Header: Depth=3
	s_waitcnt vmcnt(0) lgkmcnt(0)
	v_add_co_u32_e32 v4, vcc, 8, v52
	v_addc_co_u32_e32 v5, vcc, 0, v53, vcc
	v_cmp_lt_u64_e32 vcc, v[4:5], v[0:1]
	v_mov_b32_e32 v40, 0
	s_or_b64 s[48:49], s[48:49], exec
	s_and_saveexec_b64 s[50:51], vcc
	s_cbranch_execz .LBB4_234
; %bb.236:                              ;   in Loop: Header=BB4_235 Depth=3
	v_accvgpr_read_b32 v4, a26
	v_accvgpr_read_b32 v5, a27
	s_sleep 1
	flat_load_dwordx2 v[52:53], v[4:5] glc
	v_add_u32_e32 v3, 1, v3
	v_cmp_eq_u32_e32 vcc, s59, v3
	s_mov_b64 s[54:55], -1
	v_mov_b32_e32 v40, 0
	s_and_saveexec_b64 s[52:53], vcc
	s_cbranch_execz .LBB4_233
; %bb.237:                              ;   in Loop: Header=BB4_235 Depth=3
	s_trap 2
	ds_read_b64 v[4:5], v0
	v_mov_b32_e32 v3, 0
	v_mov_b32_e32 v40, 0
	s_waitcnt vmcnt(0) lgkmcnt(0)
	flat_load_dword v4, v[4:5] glc
	s_waitcnt vmcnt(0) lgkmcnt(0)
	buffer_invl2
	buffer_wbinvl1_vol
	v_cmp_ne_u32_e32 vcc, 0, v4
	s_and_saveexec_b64 s[56:57], vcc
	s_cbranch_execz .LBB4_232
; %bb.238:                              ;   in Loop: Header=BB4_235 Depth=3
	v_mov_b32_e32 v40, 1
	s_xor_b64 s[54:55], exec, -1
	ds_write_b32 v0, v4
	s_trap 2
	s_branch .LBB4_232
.LBB4_239:                              ;   in Loop: Header=BB4_220 Depth=2
	s_or_b64 exec, exec, s[46:47]
.LBB4_240:                              ;   in Loop: Header=BB4_220 Depth=2
	s_or_b64 exec, exec, s[44:45]
.LBB4_241:                              ;   in Loop: Header=BB4_220 Depth=2
	s_or_b64 exec, exec, s[42:43]
	s_and_saveexec_b64 s[42:43], s[8:9]
	s_cbranch_execz .LBB4_243
; %bb.242:                              ;   in Loop: Header=BB4_220 Depth=2
	v_and_b32_e32 v42, 0x7ffffff8, v14
	v_mov_b32_e32 v3, s21
	v_cmp_eq_u64_e32 vcc, s[34:35], v[42:43]
	v_accvgpr_read_b32 v4, a46
	v_cndmask_b32_e32 v4, v4, v3, vcc
	v_and_b32_e32 v3, 7, v14
	v_ashrrev_i32_e32 v5, 31, v4
	v_mad_u64_u32 v[8:9], vcc, v3, 24, v[12:13]
	flat_store_dwordx2 v[8:9], v[4:5] offset:8
	s_waitcnt vmcnt(0)
	v_accvgpr_read_b32 v8, a44
	v_accvgpr_read_b32 v9, a45
.LBB4_243:                              ;   in Loop: Header=BB4_220 Depth=2
	s_or_b64 exec, exec, s[42:43]
	v_pk_mov_b32 v[14:15], v[0:1], v[0:1] op_sel:[0,1]
	s_or_b64 exec, exec, s[18:19]
	s_and_saveexec_b64 s[18:19], s[10:11]
	s_cbranch_execz .LBB4_222
.LBB4_244:                              ;   in Loop: Header=BB4_220 Depth=2
	s_and_saveexec_b64 vcc, s[28:29]
	s_xor_b64 s[42:43], exec, vcc
	s_cbranch_execz .LBB4_259
; %bb.245:                              ;   in Loop: Header=BB4_220 Depth=2
	s_and_saveexec_b64 s[44:45], s[12:13]
	s_cbranch_execz .LBB4_258
; %bb.246:                              ;   in Loop: Header=BB4_220 Depth=2
	s_mov_b64 s[48:49], exec
	v_mbcnt_lo_u32_b32 v0, s48, 0
	v_mbcnt_hi_u32_b32 v0, s49, v0
	v_cmp_eq_u32_e32 vcc, 0, v0
	s_waitcnt vmcnt(0) lgkmcnt(0)
	buffer_wbinvl1_vol
	s_and_saveexec_b64 s[46:47], vcc
	s_cbranch_execz .LBB4_248
; %bb.247:                              ;   in Loop: Header=BB4_220 Depth=2
	s_bcnt1_i32_b64 vcc_lo, s[48:49]
	v_mov_b32_e32 v42, vcc_lo
	ds_add_u64 v0, v[42:43]
	s_trap 2
.LBB4_248:                              ;   in Loop: Header=BB4_220 Depth=2
	s_or_b64 exec, exec, s[46:47]
	s_trap 2
	ds_read_b64 v[0:1], v0
	v_accvgpr_read_b32 v4, a32
	v_add_co_u32_e32 v54, vcc, v54, v4
	v_accvgpr_read_b32 v3, a29
	v_addc_co_u32_e32 v55, vcc, v55, v3, vcc
	s_waitcnt lgkmcnt(0)
	v_cmp_lt_u64_e32 vcc, v[0:1], v[54:55]
	s_and_saveexec_b64 s[46:47], vcc
	s_cbranch_execz .LBB4_257
; %bb.249:                              ;   in Loop: Header=BB4_220 Depth=2
	s_mov_b32 s71, 0
	s_mov_b64 s[48:49], 0
                                        ; implicit-def: $sgpr50_sgpr51
                                        ; implicit-def: $sgpr52_sgpr53
	s_branch .LBB4_251
.LBB4_250:                              ;   in Loop: Header=BB4_251 Depth=3
	s_or_b64 exec, exec, s[56:57]
	s_and_b64 vcc, exec, vcc
	s_or_b64 s[48:49], vcc, s[48:49]
	s_andn2_b64 vcc, s[50:51], exec
	s_and_b64 s[50:51], s[52:53], exec
	s_or_b64 s[50:51], vcc, s[50:51]
	s_andn2_b64 exec, exec, s[48:49]
	s_cbranch_execz .LBB4_255
.LBB4_251:                              ;   Parent Loop BB4_27 Depth=1
                                        ;     Parent Loop BB4_220 Depth=2
                                        ; =>    This Inner Loop Header: Depth=3
	s_add_i32 s71, s71, 1
	s_cmpk_lg_i32 s71, 0x2710
	s_cselect_b64 s[54:55], -1, 0
	s_and_b64 vcc, exec, s[54:55]
                                        ; implicit-def: $sgpr56_sgpr57
	s_cbranch_vccnz .LBB4_253
; %bb.252:                              ;   in Loop: Header=BB4_251 Depth=3
	s_trap 2
	ds_read_b64 v[0:1], v0
	s_andn2_b64 s[54:55], s[54:55], exec
	s_mov_b32 s71, 0
	s_mov_b64 s[56:57], -1
	s_waitcnt lgkmcnt(0)
	flat_load_dword v0, v[0:1] glc
	s_waitcnt vmcnt(0) lgkmcnt(0)
	buffer_invl2
	buffer_wbinvl1_vol
	v_cmp_eq_u32_e32 vcc, 0, v0
	s_and_b64 vcc, vcc, exec
	s_or_b64 s[54:55], s[54:55], vcc
.LBB4_253:                              ;   in Loop: Header=BB4_251 Depth=3
	s_andn2_b64 s[52:53], s[52:53], exec
	s_and_b64 s[56:57], s[56:57], exec
	s_mov_b64 vcc, -1
	s_or_b64 s[52:53], s[52:53], s[56:57]
	s_and_saveexec_b64 s[56:57], s[54:55]
	s_cbranch_execz .LBB4_250
; %bb.254:                              ;   in Loop: Header=BB4_251 Depth=3
	s_sleep 1
	s_trap 2
	ds_read_b64 v[0:1], v0
	s_andn2_b64 s[52:53], s[52:53], exec
	s_waitcnt lgkmcnt(0)
	v_cmp_ge_u64_e32 vcc, v[0:1], v[54:55]
	s_orn2_b64 vcc, vcc, exec
	s_branch .LBB4_250
.LBB4_255:                              ;   in Loop: Header=BB4_220 Depth=2
	s_or_b64 exec, exec, s[48:49]
	s_and_saveexec_b64 vcc, s[50:51]
	s_xor_b64 vcc, exec, vcc
	s_cbranch_execz .LBB4_257
; %bb.256:                              ;   in Loop: Header=BB4_220 Depth=2
	v_mov_b32_e32 v0, 1
	ds_write_b32 v0, v0
	s_trap 2
.LBB4_257:                              ;   in Loop: Header=BB4_220 Depth=2
	s_or_b64 exec, exec, s[46:47]
	;;#ASMSTART
	s_wakeup
	;;#ASMEND
.LBB4_258:                              ;   in Loop: Header=BB4_220 Depth=2
	s_or_b64 exec, exec, s[44:45]
.LBB4_259:                              ;   in Loop: Header=BB4_220 Depth=2
	s_andn2_saveexec_b64 vcc, s[42:43]
	s_cbranch_execz .LBB4_261
; %bb.260:                              ;   in Loop: Header=BB4_220 Depth=2
	s_waitcnt vmcnt(0) lgkmcnt(0)
	buffer_wbinvl1_vol
	s_barrier
.LBB4_261:                              ;   in Loop: Header=BB4_220 Depth=2
	s_or_b64 exec, exec, vcc
	s_or_b64 exec, exec, s[18:19]
	v_accvgpr_read_b32 v0, a2
	s_and_saveexec_b64 s[42:43], s[16:17]
	s_cbranch_execz .LBB4_223
.LBB4_262:                              ;   in Loop: Header=BB4_220 Depth=2
	v_accvgpr_read_b32 v4, a50
	s_waitcnt vmcnt(0) lgkmcnt(0)
	v_ashrrev_i32_e32 v0, 31, v2
	v_accvgpr_read_b32 v3, a3
	v_accvgpr_read_b32 v5, a51
	;; [unrolled: 1-line block ×3, first 2 shown]
	v_mad_u64_u32 v[10:11], s[18:19], v3, v2, v[4:5]
	v_mul_lo_u32 v1, v1, v2
	v_mul_lo_u32 v0, v3, v0
	v_add3_u32 v11, v1, v11, v0
	v_and_b32_e32 v0, 7, v34
	v_mul_lo_u32 v0, v0, s58
	v_ashrrev_i32_e32 v1, 31, v0
	v_lshlrev_b64 v[0:1], 4, v[0:1]
	v_accvgpr_read_b32 v2, a18
	v_add_co_u32_e32 v46, vcc, v2, v0
	v_and_b32_e32 v0, 7, v28
	v_accvgpr_read_b32 v3, a19
	v_mul_lo_u32 v0, v0, s58
	v_addc_co_u32_e32 v48, vcc, v3, v1, vcc
	v_ashrrev_i32_e32 v1, 31, v0
	v_lshlrev_b64 v[0:1], 4, v[0:1]
	v_accvgpr_read_b32 v2, a20
	v_accvgpr_read_b32 v3, a21
	v_add_co_u32_e32 v57, vcc, v2, v0
	v_addc_co_u32_e32 v8, vcc, v3, v1, vcc
	v_mov_b32_e32 v1, v28
	v_add_co_u32_e64 v9, vcc, 0, 0
	v_add_u32_e32 v49, 1, v34
	v_addc_co_u32_e32 v3, vcc, 1, v1, vcc
	s_mov_b64 s[44:45], 0
	v_mov_b32_e32 v21, v32
	v_accvgpr_read_b32 v0, a2
	s_branch .LBB4_264
.LBB4_263:                              ;   in Loop: Header=BB4_264 Depth=3
	s_or_b64 exec, exec, s[18:19]
	v_lshlrev_b32_e32 v17, 8, v61
	v_add_co_u32_e32 v10, vcc, v10, v56
	v_perm_b32 v1, v17, v1, s65
	v_lshlrev_b32_e32 v17, 8, v26
	v_addc_co_u32_e32 v11, vcc, v11, v45, vcc
	v_lshlrev_b32_e32 v18, 24, v16
	v_perm_b32 v16, v17, v19, s65
	v_and_b32_e32 v2, 0xff, v24
	v_lshl_or_b32 v19, v27, 16, v16
	v_add_co_u32_e32 v16, vcc, v57, v4
	v_lshlrev_b32_e32 v2, 16, v2
	v_addc_co_u32_e32 v17, vcc, v8, v5, vcc
	v_sub_u32_e32 v21, v21, v56
	v_lshl_or_b32 v2, v25, 24, v2
	v_cmp_gt_i32_e32 vcc, 1, v21
	v_or3_b32 v2, v2, v1, v9
	v_or3_b32 v4, v18, v19, v9
	v_mov_b32_e32 v5, v3
	s_or_b64 s[44:45], vcc, s[44:45]
	v_add_u32_e32 v0, v0, v20
	global_store_dwordx4 v[16:17], v[2:5], off
	s_andn2_b64 exec, exec, s[44:45]
	s_cbranch_execz .LBB4_616
.LBB4_264:                              ;   Parent Loop BB4_27 Depth=1
                                        ;     Parent Loop BB4_220 Depth=2
                                        ; =>    This Loop Header: Depth=3
                                        ;         Child Loop BB4_272 Depth 4
	v_and_b32_e32 v4, -4, v10
	v_mov_b32_e32 v5, v11
	global_load_dword v2, v[4:5], off glc slc
	v_min_u32_e32 v1, 8, v21
	v_and_b32_e32 v16, 3, v10
	v_add_co_u32_e32 v16, vcc, v16, v1
	v_addc_co_u32_e64 v17, s[18:19], 0, 0, vcc
	v_mov_b32_e32 v26, 0
	v_cmp_lt_u64_e32 vcc, 4, v[16:17]
	v_mov_b32_e32 v27, 0
	s_and_saveexec_b64 s[18:19], vcc
	s_cbranch_execz .LBB4_266
; %bb.265:                              ;   in Loop: Header=BB4_264 Depth=3
	global_load_dword v27, v[4:5], off offset:4 glc slc
.LBB4_266:                              ;   in Loop: Header=BB4_264 Depth=3
	s_or_b64 exec, exec, s[18:19]
	v_cmp_lt_u64_e32 vcc, 8, v[16:17]
	s_and_saveexec_b64 s[18:19], vcc
	s_cbranch_execz .LBB4_268
; %bb.267:                              ;   in Loop: Header=BB4_264 Depth=3
	global_load_dword v26, v[4:5], off offset:8 glc slc
.LBB4_268:                              ;   in Loop: Header=BB4_264 Depth=3
	s_or_b64 exec, exec, s[18:19]
	v_ashrrev_i32_e32 v1, 31, v0
	v_lshlrev_b64 v[4:5], 4, v[0:1]
	v_add_co_u32_e32 v24, vcc, v46, v4
	v_addc_co_u32_e32 v25, vcc, v48, v5, vcc
	global_load_dwordx4 v[16:19], v[24:25], off glc slc
	v_cmp_eq_u32_e32 vcc, 0, v40
	s_and_saveexec_b64 s[46:47], vcc
	s_cbranch_execz .LBB4_280
; %bb.269:                              ;   in Loop: Header=BB4_264 Depth=3
	s_waitcnt vmcnt(0)
	v_cmp_ne_u32_e32 vcc, v49, v17
	v_cmp_ne_u32_e64 s[18:19], v49, v19
	s_or_b64 s[18:19], vcc, s[18:19]
	v_mov_b32_e32 v40, 0
	s_and_saveexec_b64 s[48:49], s[18:19]
	s_cbranch_execz .LBB4_279
; %bb.270:                              ;   in Loop: Header=BB4_264 Depth=3
	s_mov_b32 s54, 1
	s_mov_b64 s[50:51], 0
	v_mov_b32_e32 v40, 0
	s_branch .LBB4_272
.LBB4_271:                              ;   in Loop: Header=BB4_272 Depth=4
	s_or_b64 exec, exec, s[52:53]
	s_and_b64 s[18:19], exec, s[18:19]
	s_or_b64 s[50:51], s[18:19], s[50:51]
	s_andn2_b64 exec, exec, s[50:51]
	s_cbranch_execz .LBB4_278
.LBB4_272:                              ;   Parent Loop BB4_27 Depth=1
                                        ;     Parent Loop BB4_220 Depth=2
                                        ;       Parent Loop BB4_264 Depth=3
                                        ; =>      This Inner Loop Header: Depth=4
	global_load_dwordx4 v[16:19], v[24:25], off glc slc
	s_add_i32 s54, s54, 1
	s_cmpk_lg_i32 s54, 0x2710
	s_cbranch_scc1 .LBB4_276
; %bb.273:                              ;   in Loop: Header=BB4_272 Depth=4
	s_trap 2
	ds_read_b64 v[22:23], v0
	s_waitcnt vmcnt(0) lgkmcnt(0)
	flat_load_dword v1, v[22:23] glc
	s_waitcnt vmcnt(0) lgkmcnt(0)
	buffer_invl2
	buffer_wbinvl1_vol
	v_cmp_ne_u32_e32 vcc, 0, v1
	s_and_saveexec_b64 s[18:19], vcc
	s_cbranch_execz .LBB4_275
; %bb.274:                              ;   in Loop: Header=BB4_272 Depth=4
	v_mov_b32_e32 v40, 1
	ds_write_b32 v0, v1
	s_trap 2
.LBB4_275:                              ;   in Loop: Header=BB4_272 Depth=4
	s_or_b64 exec, exec, s[18:19]
	s_mov_b32 s54, 0
	v_mov_b32_e32 v1, v40
	v_cmp_eq_u32_e32 vcc, 0, v1
	s_mov_b64 s[18:19], -1
	s_and_saveexec_b64 s[52:53], vcc
	s_cbranch_execz .LBB4_271
	s_branch .LBB4_277
.LBB4_276:                              ;   in Loop: Header=BB4_272 Depth=4
	v_mov_b32_e32 v1, 0
	v_cmp_eq_u32_e32 vcc, 0, v1
	s_mov_b64 s[18:19], -1
	s_and_saveexec_b64 s[52:53], vcc
	s_cbranch_execz .LBB4_271
.LBB4_277:                              ;   in Loop: Header=BB4_272 Depth=4
	s_waitcnt vmcnt(0)
	v_cmp_eq_u32_e32 vcc, v49, v17
	v_cmp_eq_u32_e64 s[18:19], v49, v19
	s_and_b64 s[18:19], vcc, s[18:19]
	s_orn2_b64 s[18:19], s[18:19], exec
	s_branch .LBB4_271
.LBB4_278:                              ;   in Loop: Header=BB4_264 Depth=3
	s_or_b64 exec, exec, s[50:51]
.LBB4_279:                              ;   in Loop: Header=BB4_264 Depth=3
	s_or_b64 exec, exec, s[48:49]
.LBB4_280:                              ;   in Loop: Header=BB4_264 Depth=3
	s_or_b64 exec, exec, s[46:47]
	v_lshlrev_b32_e32 v31, 3, v10
	s_waitcnt vmcnt(1)
	v_alignbit_b32 v42, v27, v2, v31
	v_cmp_ne_u16_sdwa vcc, v42, v43 src0_sel:BYTE_0 src1_sel:DWORD
	v_mov_b32_e32 v1, 0
	s_and_saveexec_b64 s[18:19], vcc
	s_cbranch_execz .LBB4_286
; %bb.281:                              ;   in Loop: Header=BB4_264 Depth=3
	v_cmp_ne_u16_sdwa vcc, v42, s61 src0_sel:BYTE_0 src1_sel:DWORD
	v_bfrev_b32_e32 v1, 1
	s_and_saveexec_b64 s[46:47], vcc
	s_cbranch_execz .LBB4_285
; %bb.282:                              ;   in Loop: Header=BB4_264 Depth=3
	v_and_b32_e32 v2, 0x7f, v42
	v_cmp_ne_u32_e32 vcc, s62, v2
	v_mov_b32_e32 v1, 0x7f800001
	s_and_saveexec_b64 s[48:49], vcc
	s_cbranch_execz .LBB4_284
; %bb.283:                              ;   in Loop: Header=BB4_264 Depth=3
	v_and_b32_e32 v1, 7, v42
	v_ffbh_u32_e32 v1, v1
	v_min_u32_e32 v1, 32, v1
	v_subrev_u32_e32 v23, 28, v1
	v_cmp_gt_u32_e32 vcc, 8, v2
	v_lshrrev_b32_e32 v22, 3, v2
	v_sub_u32_e32 v1, 29, v1
	v_cndmask_b32_e32 v2, 0, v23, vcc
	v_cndmask_b32_e32 v1, v22, v1, vcc
	v_lshlrev_b64 v[22:23], v2, v[42:43]
	v_lshlrev_b32_e32 v2, 20, v22
	v_lshlrev_b32_e32 v22, 24, v42
	v_and_b32_e32 v2, 0x700000, v2
	v_and_b32_e32 v22, 0x80000000, v22
	v_lshl_add_u32 v1, v1, 23, v47
	v_or3_b32 v1, v22, v1, v2
.LBB4_284:                              ;   in Loop: Header=BB4_264 Depth=3
	s_or_b64 exec, exec, s[48:49]
.LBB4_285:                              ;   in Loop: Header=BB4_264 Depth=3
	s_or_b64 exec, exec, s[46:47]
.LBB4_286:                              ;   in Loop: Header=BB4_264 Depth=3
	s_or_b64 exec, exec, s[18:19]
	v_mul_f32_e32 v33, v62, v1
	v_and_b32_sdwa v2, v33, s61 dst_sel:DWORD dst_unused:UNUSED_PAD src0_sel:BYTE_3 src1_sel:DWORD
	v_and_b32_e32 v22, 0x7f800000, v33
	v_mov_b32_e32 v23, v43
	v_and_b32_e32 v24, 0x7fffff, v33
	v_mov_b32_e32 v25, v43
	v_or_b32_e32 v1, 0x7e, v2
	v_cmp_ne_u64_e32 vcc, s[36:37], v[22:23]
	s_and_saveexec_b64 s[18:19], vcc
	s_xor_b64 s[46:47], exec, s[18:19]
	s_cbranch_execz .LBB4_296
; %bb.287:                              ;   in Loop: Header=BB4_264 Depth=3
	v_and_b32_e32 v22, 0x7fffffff, v33
	v_mov_b32_e32 v23, v43
	v_cmp_gt_u64_e32 vcc, s[38:39], v[22:23]
	s_and_saveexec_b64 s[48:49], vcc
	s_cbranch_execz .LBB4_295
; %bb.288:                              ;   in Loop: Header=BB4_264 Depth=3
	v_cmp_ne_u32_e32 vcc, 0, v33
	v_mov_b32_e32 v1, 0
	s_and_saveexec_b64 s[50:51], vcc
	s_cbranch_execz .LBB4_294
; %bb.289:                              ;   in Loop: Header=BB4_264 Depth=3
	v_bfe_u32 v1, v33, 23, 8
	v_sub_u32_e32 v23, 0x79, v1
	v_cmp_gt_u32_e32 vcc, s63, v1
	v_cndmask_b32_e32 v23, 0, v23, vcc
	v_cmp_eq_u32_e32 vcc, 0, v1
	v_add_u32_e32 v22, 0xffffff81, v1
	v_cndmask_b32_e32 v36, v23, v6, vcc
	v_cndmask_b32_e32 v1, v22, v30, vcc
	v_add_u32_e32 v22, 20, v36
	v_or_b32_e32 v33, 0x800000, v24
	v_lshlrev_b64 v[22:23], v22, -1
	v_cndmask_b32_e32 v24, v33, v24, vcc
	v_not_b32_e32 v22, v22
	v_and_b32_e32 v22, v24, v22
	v_add_u32_e32 v33, 19, v36
	v_lshrrev_b64 v[24:25], v36, v[24:25]
	v_not_b32_e32 v23, v23
	v_lshlrev_b64 v[60:61], v33, 1
	v_lshrrev_b32_e32 v33, 23, v24
	v_and_b32_e32 v23, 0, v23
	v_add3_u32 v44, v36, v1, v33
	v_bfe_u32 v1, v24, 20, 1
	v_add_u32_e32 v1, -1, v1
	v_cmp_eq_u64_e32 vcc, v[22:23], v[60:61]
	v_cndmask_b32_e32 v1, 0, v1, vcc
	v_add_u32_e32 v1, v1, v24
	v_and_b32_e32 v1, 0xfffff, v1
	v_add_co_u32_e32 v24, vcc, v1, v24
	v_add_u32_e32 v33, 6, v44
	v_addc_co_u32_e32 v25, vcc, 0, v25, vcc
	v_cmp_ne_u32_e32 vcc, 0, v33
                                        ; implicit-def: $vgpr1
	s_and_saveexec_b64 s[18:19], vcc
	s_xor_b64 s[18:19], exec, s[18:19]
; %bb.290:                              ;   in Loop: Header=BB4_264 Depth=3
	v_cmp_lt_u64_e32 vcc, s[40:41], v[24:25]
	v_add_u32_e32 v1, 7, v44
	v_cndmask_b32_e64 v22, 0, 1, vcc
	v_cndmask_b32_e32 v1, v33, v1, vcc
	v_lshrrev_b64 v[24:25], v22, v[24:25]
; %bb.291:                              ;   in Loop: Header=BB4_264 Depth=3
	s_andn2_saveexec_b64 s[18:19], s[18:19]
; %bb.292:                              ;   in Loop: Header=BB4_264 Depth=3
	v_bfe_u32 v1, v24, 23, 1
; %bb.293:                              ;   in Loop: Header=BB4_264 Depth=3
	s_or_b64 exec, exec, s[18:19]
	v_lshrrev_b64 v[22:23], 20, v[24:25]
	v_cmp_gt_i32_e32 vcc, 16, v1
	v_cndmask_b32_e32 v23, 0, v23, vcc
	v_cndmask_b32_e32 v22, 7, v22, vcc
	v_cmp_eq_u32_e32 vcc, 0, v1
	v_min_i32_e32 v1, 15, v1
	v_cmp_eq_u64_e64 s[18:19], 0, v[22:23]
	v_lshlrev_b32_e32 v1, 3, v1
	v_and_or_b32 v1, v22, 7, v1
	s_and_b64 s[18:19], vcc, s[18:19]
	v_cndmask_b32_e64 v1, v1, 0, s[18:19]
	v_or_b32_e32 v1, v1, v2
.LBB4_294:                              ;   in Loop: Header=BB4_264 Depth=3
	s_or_b64 exec, exec, s[50:51]
.LBB4_295:                              ;   in Loop: Header=BB4_264 Depth=3
	s_or_b64 exec, exec, s[48:49]
                                        ; implicit-def: $vgpr33
                                        ; implicit-def: $vgpr24_vgpr25
.LBB4_296:                              ;   in Loop: Header=BB4_264 Depth=3
	s_andn2_saveexec_b64 s[18:19], s[46:47]
; %bb.297:                              ;   in Loop: Header=BB4_264 Depth=3
	v_or_b32_sdwa v2, v33, s62 dst_sel:DWORD dst_unused:UNUSED_PAD src0_sel:BYTE_3 src1_sel:DWORD
	v_cmp_eq_u64_e32 vcc, 0, v[24:25]
	v_cndmask_b32_e32 v1, v2, v1, vcc
; %bb.298:                              ;   in Loop: Header=BB4_264 Depth=3
	s_or_b64 exec, exec, s[18:19]
	v_lshrrev_b16_e32 v2, 8, v42
	v_cmp_ne_u16_e32 vcc, 0, v2
	v_mov_b32_e32 v24, 0
	s_and_saveexec_b64 s[18:19], vcc
	s_cbranch_execz .LBB4_304
; %bb.299:                              ;   in Loop: Header=BB4_264 Depth=3
	v_cmp_ne_u16_e32 vcc, s61, v2
	v_bfrev_b32_e32 v24, 1
	s_and_saveexec_b64 s[46:47], vcc
	s_cbranch_execz .LBB4_303
; %bb.300:                              ;   in Loop: Header=BB4_264 Depth=3
	v_and_b32_e32 v22, 0x7f, v2
	v_cmp_ne_u32_e32 vcc, s62, v22
	v_mov_b32_e32 v24, 0x7f800001
	s_and_saveexec_b64 s[48:49], vcc
	s_cbranch_execz .LBB4_302
; %bb.301:                              ;   in Loop: Header=BB4_264 Depth=3
	v_and_b32_e32 v23, 7, v2
	v_ffbh_u32_e32 v24, v23
	v_min_u32_e32 v36, 32, v24
	v_subrev_u32_e32 v24, 28, v36
	v_lshlrev_b64 v[24:25], v24, v[2:3]
	v_lshrrev_b32_e32 v33, 3, v22
	v_sub_u32_e32 v2, 29, v36
	v_and_b32_e32 v24, 7, v24
	v_cmp_gt_u32_e32 vcc, 8, v22
	v_cndmask_b32_e32 v2, v33, v2, vcc
	v_cndmask_b32_e32 v22, v23, v24, vcc
	v_lshlrev_b32_e32 v23, 16, v42
	v_lshlrev_b32_e32 v22, 20, v22
	v_and_b32_e32 v23, 0x80000000, v23
	v_lshl_add_u32 v2, v2, 23, v47
	v_or3_b32 v24, v23, v2, v22
.LBB4_302:                              ;   in Loop: Header=BB4_264 Depth=3
	s_or_b64 exec, exec, s[48:49]
.LBB4_303:                              ;   in Loop: Header=BB4_264 Depth=3
	s_or_b64 exec, exec, s[46:47]
.LBB4_304:                              ;   in Loop: Header=BB4_264 Depth=3
	s_or_b64 exec, exec, s[18:19]
	v_mul_f32_e32 v33, v62, v24
	v_and_b32_sdwa v2, v33, s61 dst_sel:DWORD dst_unused:UNUSED_PAD src0_sel:BYTE_3 src1_sel:DWORD
	v_and_b32_e32 v22, 0x7f800000, v33
	v_mov_b32_e32 v23, v43
	v_and_b32_e32 v24, 0x7fffff, v33
	v_mov_b32_e32 v25, v43
	v_or_b32_e32 v61, 0x7e, v2
	v_cmp_ne_u64_e32 vcc, s[36:37], v[22:23]
	s_and_saveexec_b64 s[18:19], vcc
	s_xor_b64 s[46:47], exec, s[18:19]
	s_cbranch_execz .LBB4_314
; %bb.305:                              ;   in Loop: Header=BB4_264 Depth=3
	v_and_b32_e32 v22, 0x7fffffff, v33
	v_mov_b32_e32 v23, v43
	v_cmp_gt_u64_e32 vcc, s[38:39], v[22:23]
	s_and_saveexec_b64 s[48:49], vcc
	s_cbranch_execz .LBB4_313
; %bb.306:                              ;   in Loop: Header=BB4_264 Depth=3
	v_cmp_ne_u32_e32 vcc, 0, v33
	v_mov_b32_e32 v61, 0
	s_and_saveexec_b64 s[50:51], vcc
	s_cbranch_execz .LBB4_312
; %bb.307:                              ;   in Loop: Header=BB4_264 Depth=3
	v_bfe_u32 v22, v33, 23, 8
	v_sub_u32_e32 v33, 0x79, v22
	v_cmp_gt_u32_e32 vcc, s63, v22
	v_cndmask_b32_e32 v33, 0, v33, vcc
	v_cmp_eq_u32_e32 vcc, 0, v22
	v_cndmask_b32_e32 v33, v33, v6, vcc
	v_add_u32_e32 v23, 0xffffff81, v22
	v_add_u32_e32 v22, 20, v33
	v_or_b32_e32 v36, 0x800000, v24
	v_cndmask_b32_e32 v50, v23, v30, vcc
	v_lshlrev_b64 v[22:23], v22, -1
	v_cndmask_b32_e32 v24, v36, v24, vcc
	v_not_b32_e32 v22, v22
	v_and_b32_e32 v22, v24, v22
	v_lshrrev_b64 v[24:25], v33, v[24:25]
	v_not_b32_e32 v23, v23
	v_add_u32_e32 v36, 19, v33
	v_lshrrev_b32_e32 v51, 23, v24
	v_and_b32_e32 v23, 0, v23
	v_lshlrev_b64 v[36:37], v36, 1
	v_add3_u32 v60, v33, v50, v51
	v_bfe_u32 v33, v24, 20, 1
	v_add_u32_e32 v33, -1, v33
	v_cmp_eq_u64_e32 vcc, v[22:23], v[36:37]
	v_cndmask_b32_e32 v22, 0, v33, vcc
	v_add_u32_e32 v22, v22, v24
	v_and_b32_e32 v22, 0xfffff, v22
	v_add_co_u32_e32 v24, vcc, v22, v24
	v_add_u32_e32 v44, 6, v60
	v_addc_co_u32_e32 v25, vcc, 0, v25, vcc
	v_cmp_ne_u32_e32 vcc, 0, v44
                                        ; implicit-def: $vgpr33
	s_and_saveexec_b64 s[18:19], vcc
	s_xor_b64 s[18:19], exec, s[18:19]
; %bb.308:                              ;   in Loop: Header=BB4_264 Depth=3
	v_add_u32_e32 v22, 7, v60
	v_cmp_lt_u64_e32 vcc, s[40:41], v[24:25]
	v_cndmask_b32_e32 v33, v44, v22, vcc
	v_cndmask_b32_e64 v22, 0, 1, vcc
	v_lshrrev_b64 v[24:25], v22, v[24:25]
; %bb.309:                              ;   in Loop: Header=BB4_264 Depth=3
	s_andn2_saveexec_b64 s[18:19], s[18:19]
; %bb.310:                              ;   in Loop: Header=BB4_264 Depth=3
	v_bfe_u32 v33, v24, 23, 1
; %bb.311:                              ;   in Loop: Header=BB4_264 Depth=3
	s_or_b64 exec, exec, s[18:19]
	v_lshrrev_b64 v[22:23], 20, v[24:25]
	v_cmp_gt_i32_e32 vcc, 16, v33
	v_cndmask_b32_e32 v23, 0, v23, vcc
	v_cndmask_b32_e32 v22, 7, v22, vcc
	v_cmp_eq_u64_e64 s[18:19], 0, v[22:23]
	v_min_i32_e32 v23, 15, v33
	v_cmp_eq_u32_e32 vcc, 0, v33
	v_lshlrev_b32_e32 v23, 3, v23
	v_and_or_b32 v22, v22, 7, v23
	s_and_b64 s[18:19], vcc, s[18:19]
	v_cndmask_b32_e64 v22, v22, 0, s[18:19]
	v_or_b32_e32 v61, v22, v2
.LBB4_312:                              ;   in Loop: Header=BB4_264 Depth=3
	s_or_b64 exec, exec, s[50:51]
.LBB4_313:                              ;   in Loop: Header=BB4_264 Depth=3
	s_or_b64 exec, exec, s[48:49]
                                        ; implicit-def: $vgpr33
                                        ; implicit-def: $vgpr24_vgpr25
.LBB4_314:                              ;   in Loop: Header=BB4_264 Depth=3
	s_andn2_saveexec_b64 s[18:19], s[46:47]
; %bb.315:                              ;   in Loop: Header=BB4_264 Depth=3
	v_or_b32_sdwa v2, v33, s62 dst_sel:DWORD dst_unused:UNUSED_PAD src0_sel:BYTE_3 src1_sel:DWORD
	v_cmp_eq_u64_e32 vcc, 0, v[24:25]
	v_cndmask_b32_e32 v61, v2, v61, vcc
; %bb.316:                              ;   in Loop: Header=BB4_264 Depth=3
	s_or_b64 exec, exec, s[18:19]
	v_and_b32_sdwa v22, v42, s60 dst_sel:DWORD dst_unused:UNUSED_PAD src0_sel:WORD_1 src1_sel:DWORD
	v_lshrrev_b32_e32 v2, 16, v42
	v_cmp_ne_u16_e32 vcc, 0, v22
	v_mov_b32_e32 v24, 0
	s_and_saveexec_b64 s[18:19], vcc
	s_cbranch_execz .LBB4_322
; %bb.317:                              ;   in Loop: Header=BB4_264 Depth=3
	v_cmp_ne_u16_e32 vcc, s61, v22
	v_bfrev_b32_e32 v24, 1
	s_and_saveexec_b64 s[46:47], vcc
	s_cbranch_execz .LBB4_321
; %bb.318:                              ;   in Loop: Header=BB4_264 Depth=3
	v_bfe_u32 v22, v42, 16, 7
	v_cmp_ne_u32_e32 vcc, s62, v22
	v_mov_b32_e32 v24, 0x7f800001
	s_and_saveexec_b64 s[48:49], vcc
	s_cbranch_execz .LBB4_320
; %bb.319:                              ;   in Loop: Header=BB4_264 Depth=3
	v_and_b32_e32 v23, 7, v2
	v_ffbh_u32_e32 v24, v23
	v_min_u32_e32 v36, 32, v24
	v_subrev_u32_e32 v24, 28, v36
	v_lshlrev_b64 v[24:25], v24, v[2:3]
	v_lshrrev_b32_e32 v33, 3, v22
	v_sub_u32_e32 v2, 29, v36
	v_and_b32_e32 v24, 7, v24
	v_cmp_gt_u32_e32 vcc, 8, v22
	v_cndmask_b32_e32 v2, v33, v2, vcc
	v_cndmask_b32_e32 v22, v23, v24, vcc
	v_lshlrev_b32_sdwa v23, v7, v42 dst_sel:DWORD dst_unused:UNUSED_PAD src0_sel:DWORD src1_sel:WORD_1
	v_lshlrev_b32_e32 v22, 20, v22
	v_and_b32_e32 v23, 0x80000000, v23
	v_lshl_add_u32 v2, v2, 23, v47
	v_or3_b32 v24, v23, v2, v22
.LBB4_320:                              ;   in Loop: Header=BB4_264 Depth=3
	s_or_b64 exec, exec, s[48:49]
.LBB4_321:                              ;   in Loop: Header=BB4_264 Depth=3
	s_or_b64 exec, exec, s[46:47]
.LBB4_322:                              ;   in Loop: Header=BB4_264 Depth=3
	s_or_b64 exec, exec, s[18:19]
	v_mul_f32_e32 v44, v62, v24
	v_and_b32_sdwa v33, v44, s61 dst_sel:DWORD dst_unused:UNUSED_PAD src0_sel:BYTE_3 src1_sel:DWORD
	v_and_b32_e32 v22, 0x7f800000, v44
	v_mov_b32_e32 v23, v43
	v_and_b32_e32 v24, 0x7fffff, v44
	v_mov_b32_e32 v25, v43
	v_or_b32_e32 v2, 0x7e, v33
	v_cmp_ne_u64_e32 vcc, s[36:37], v[22:23]
	s_and_saveexec_b64 s[18:19], vcc
	s_xor_b64 s[46:47], exec, s[18:19]
	s_cbranch_execz .LBB4_332
; %bb.323:                              ;   in Loop: Header=BB4_264 Depth=3
	v_and_b32_e32 v22, 0x7fffffff, v44
	v_mov_b32_e32 v23, v43
	v_cmp_gt_u64_e32 vcc, s[38:39], v[22:23]
	s_and_saveexec_b64 s[48:49], vcc
	s_cbranch_execz .LBB4_331
; %bb.324:                              ;   in Loop: Header=BB4_264 Depth=3
	v_cmp_ne_u32_e32 vcc, 0, v44
	v_mov_b32_e32 v2, 0
	s_and_saveexec_b64 s[50:51], vcc
	s_cbranch_execz .LBB4_330
; %bb.325:                              ;   in Loop: Header=BB4_264 Depth=3
	v_bfe_u32 v2, v44, 23, 8
	v_sub_u32_e32 v23, 0x79, v2
	v_cmp_gt_u32_e32 vcc, s63, v2
	v_cndmask_b32_e32 v23, 0, v23, vcc
	v_cmp_eq_u32_e32 vcc, 0, v2
	v_add_u32_e32 v22, 0xffffff81, v2
	v_cndmask_b32_e32 v50, v23, v6, vcc
	v_cndmask_b32_e32 v2, v22, v30, vcc
	v_add_u32_e32 v22, 20, v50
	v_or_b32_e32 v36, 0x800000, v24
	v_lshlrev_b64 v[22:23], v22, -1
	v_cndmask_b32_e32 v24, v36, v24, vcc
	v_not_b32_e32 v22, v22
	v_and_b32_e32 v22, v24, v22
	v_lshrrev_b64 v[24:25], v50, v[24:25]
	v_not_b32_e32 v23, v23
	v_add_u32_e32 v36, 19, v50
	v_lshrrev_b32_e32 v51, 23, v24
	v_and_b32_e32 v23, 0, v23
	v_lshlrev_b64 v[36:37], v36, 1
	v_add3_u32 v60, v50, v2, v51
	v_bfe_u32 v2, v24, 20, 1
	v_add_u32_e32 v2, -1, v2
	v_cmp_eq_u64_e32 vcc, v[22:23], v[36:37]
	v_cndmask_b32_e32 v2, 0, v2, vcc
	v_add_u32_e32 v2, v2, v24
	v_and_b32_e32 v2, 0xfffff, v2
	v_add_co_u32_e32 v24, vcc, v2, v24
	v_add_u32_e32 v44, 6, v60
	v_addc_co_u32_e32 v25, vcc, 0, v25, vcc
	v_cmp_ne_u32_e32 vcc, 0, v44
                                        ; implicit-def: $vgpr2
	s_and_saveexec_b64 s[18:19], vcc
	s_xor_b64 s[18:19], exec, s[18:19]
; %bb.326:                              ;   in Loop: Header=BB4_264 Depth=3
	v_cmp_lt_u64_e32 vcc, s[40:41], v[24:25]
	v_add_u32_e32 v2, 7, v60
	v_cndmask_b32_e64 v22, 0, 1, vcc
	v_cndmask_b32_e32 v2, v44, v2, vcc
	v_lshrrev_b64 v[24:25], v22, v[24:25]
; %bb.327:                              ;   in Loop: Header=BB4_264 Depth=3
	s_andn2_saveexec_b64 s[18:19], s[18:19]
; %bb.328:                              ;   in Loop: Header=BB4_264 Depth=3
	v_bfe_u32 v2, v24, 23, 1
; %bb.329:                              ;   in Loop: Header=BB4_264 Depth=3
	s_or_b64 exec, exec, s[18:19]
	v_lshrrev_b64 v[22:23], 20, v[24:25]
	v_cmp_gt_i32_e32 vcc, 16, v2
	v_cndmask_b32_e32 v23, 0, v23, vcc
	v_cndmask_b32_e32 v22, 7, v22, vcc
	v_cmp_eq_u32_e32 vcc, 0, v2
	v_min_i32_e32 v2, 15, v2
	v_cmp_eq_u64_e64 s[18:19], 0, v[22:23]
	v_lshlrev_b32_e32 v2, 3, v2
	v_and_or_b32 v2, v22, 7, v2
	s_and_b64 s[18:19], vcc, s[18:19]
	v_cndmask_b32_e64 v2, v2, 0, s[18:19]
	v_or_b32_e32 v2, v2, v33
.LBB4_330:                              ;   in Loop: Header=BB4_264 Depth=3
	s_or_b64 exec, exec, s[50:51]
.LBB4_331:                              ;   in Loop: Header=BB4_264 Depth=3
	s_or_b64 exec, exec, s[48:49]
                                        ; implicit-def: $vgpr44
                                        ; implicit-def: $vgpr24_vgpr25
.LBB4_332:                              ;   in Loop: Header=BB4_264 Depth=3
	s_andn2_saveexec_b64 s[18:19], s[46:47]
; %bb.333:                              ;   in Loop: Header=BB4_264 Depth=3
	v_or_b32_sdwa v22, v44, s62 dst_sel:DWORD dst_unused:UNUSED_PAD src0_sel:BYTE_3 src1_sel:DWORD
	v_cmp_eq_u64_e32 vcc, 0, v[24:25]
	v_cndmask_b32_e32 v2, v22, v2, vcc
; %bb.334:                              ;   in Loop: Header=BB4_264 Depth=3
	s_or_b64 exec, exec, s[18:19]
	v_cmp_lt_u32_e32 vcc, s64, v42
	v_mov_b32_e32 v25, 0
	s_and_saveexec_b64 s[18:19], vcc
	s_cbranch_execz .LBB4_340
; %bb.335:                              ;   in Loop: Header=BB4_264 Depth=3
	v_lshrrev_b32_e32 v24, 24, v42
	v_cmp_ne_u32_sdwa vcc, v42, s61 src0_sel:BYTE_3 src1_sel:DWORD
	v_bfrev_b32_e32 v25, 1
	s_and_saveexec_b64 s[46:47], vcc
	s_cbranch_execz .LBB4_339
; %bb.336:                              ;   in Loop: Header=BB4_264 Depth=3
	v_bfe_u32 v22, v42, 24, 7
	v_cmp_ne_u32_e32 vcc, s62, v22
	v_mov_b32_e32 v25, 0x7f800001
	s_and_saveexec_b64 s[48:49], vcc
	s_cbranch_execz .LBB4_338
; %bb.337:                              ;   in Loop: Header=BB4_264 Depth=3
	v_and_b32_e32 v23, 7, v24
	v_ffbh_u32_e32 v25, v23
	v_min_u32_e32 v36, 32, v25
	v_subrev_u32_e32 v25, 28, v36
	v_lshlrev_b64 v[24:25], v25, v[24:25]
	v_lshrrev_b32_e32 v33, 3, v22
	v_sub_u32_e32 v25, 29, v36
	v_and_b32_e32 v24, 7, v24
	v_cmp_gt_u32_e32 vcc, 8, v22
	v_cndmask_b32_e32 v22, v33, v25, vcc
	v_cndmask_b32_e32 v23, v23, v24, vcc
	v_lshlrev_b32_sdwa v24, v7, v42 dst_sel:DWORD dst_unused:UNUSED_PAD src0_sel:DWORD src1_sel:BYTE_3
	v_lshlrev_b32_e32 v23, 20, v23
	v_and_b32_e32 v24, 0x80000000, v24
	v_lshl_add_u32 v22, v22, 23, v47
	v_or3_b32 v25, v24, v22, v23
.LBB4_338:                              ;   in Loop: Header=BB4_264 Depth=3
	s_or_b64 exec, exec, s[48:49]
.LBB4_339:                              ;   in Loop: Header=BB4_264 Depth=3
	s_or_b64 exec, exec, s[46:47]
.LBB4_340:                              ;   in Loop: Header=BB4_264 Depth=3
	s_or_b64 exec, exec, s[18:19]
	v_mul_f32_e32 v24, v62, v25
	v_and_b32_sdwa v33, v24, s61 dst_sel:DWORD dst_unused:UNUSED_PAD src0_sel:BYTE_3 src1_sel:DWORD
	v_and_b32_e32 v22, 0x7f800000, v24
	v_mov_b32_e32 v23, v43
	v_and_b32_e32 v42, 0x7fffff, v24
	v_or_b32_e32 v60, 0x7e, v33
	v_cmp_ne_u64_e32 vcc, s[36:37], v[22:23]
	s_and_saveexec_b64 s[18:19], vcc
	s_xor_b64 s[46:47], exec, s[18:19]
	s_cbranch_execz .LBB4_350
; %bb.341:                              ;   in Loop: Header=BB4_264 Depth=3
	v_and_b32_e32 v22, 0x7fffffff, v24
	v_mov_b32_e32 v23, v43
	v_cmp_gt_u64_e32 vcc, s[38:39], v[22:23]
	s_and_saveexec_b64 s[48:49], vcc
	s_cbranch_execz .LBB4_349
; %bb.342:                              ;   in Loop: Header=BB4_264 Depth=3
	v_cmp_ne_u32_e32 vcc, 0, v24
	v_mov_b32_e32 v60, 0
	s_and_saveexec_b64 s[50:51], vcc
	s_cbranch_execz .LBB4_348
; %bb.343:                              ;   in Loop: Header=BB4_264 Depth=3
	v_bfe_u32 v22, v24, 23, 8
	v_sub_u32_e32 v24, 0x79, v22
	v_cmp_gt_u32_e32 vcc, s63, v22
	v_cndmask_b32_e32 v24, 0, v24, vcc
	v_cmp_eq_u32_e32 vcc, 0, v22
	v_cndmask_b32_e32 v51, v24, v6, vcc
	v_add_u32_e32 v23, 0xffffff81, v22
	v_or_b32_e32 v25, 0x800000, v42
	v_add_u32_e32 v22, 20, v51
	v_cndmask_b32_e32 v50, v23, v30, vcc
	v_cndmask_b32_e32 v42, v25, v42, vcc
	v_lshlrev_b64 v[22:23], v22, -1
	v_not_b32_e32 v22, v22
	v_lshrrev_b64 v[36:37], v51, v[42:43]
	v_not_b32_e32 v23, v23
	v_and_b32_e32 v22, v42, v22
	v_add_u32_e32 v24, 19, v51
	v_lshrrev_b32_e32 v42, 23, v36
	v_and_b32_e32 v23, 0, v23
	v_lshlrev_b64 v[24:25], v24, 1
	v_add3_u32 v60, v51, v50, v42
	v_bfe_u32 v50, v36, 20, 1
	v_add_u32_e32 v50, -1, v50
	v_cmp_eq_u64_e32 vcc, v[22:23], v[24:25]
	v_cndmask_b32_e32 v22, 0, v50, vcc
	v_add_u32_e32 v22, v22, v36
	v_and_b32_e32 v22, 0xfffff, v22
	v_add_co_u32_e32 v24, vcc, v22, v36
	v_add_u32_e32 v44, 6, v60
	v_addc_co_u32_e32 v25, vcc, 0, v37, vcc
	v_cmp_ne_u32_e32 vcc, 0, v44
                                        ; implicit-def: $vgpr42
	s_and_saveexec_b64 s[18:19], vcc
	s_xor_b64 s[18:19], exec, s[18:19]
; %bb.344:                              ;   in Loop: Header=BB4_264 Depth=3
	v_add_u32_e32 v22, 7, v60
	v_cmp_lt_u64_e32 vcc, s[40:41], v[24:25]
	v_cndmask_b32_e32 v42, v44, v22, vcc
	v_cndmask_b32_e64 v22, 0, 1, vcc
	v_lshrrev_b64 v[24:25], v22, v[24:25]
; %bb.345:                              ;   in Loop: Header=BB4_264 Depth=3
	s_andn2_saveexec_b64 s[18:19], s[18:19]
; %bb.346:                              ;   in Loop: Header=BB4_264 Depth=3
	v_bfe_u32 v42, v24, 23, 1
; %bb.347:                              ;   in Loop: Header=BB4_264 Depth=3
	s_or_b64 exec, exec, s[18:19]
	v_lshrrev_b64 v[22:23], 20, v[24:25]
	v_cmp_gt_i32_e32 vcc, 16, v42
	v_cndmask_b32_e32 v23, 0, v23, vcc
	v_cndmask_b32_e32 v22, 7, v22, vcc
	v_cmp_eq_u64_e64 s[18:19], 0, v[22:23]
	v_min_i32_e32 v23, 15, v42
	v_cmp_eq_u32_e32 vcc, 0, v42
	v_lshlrev_b32_e32 v23, 3, v23
	v_and_or_b32 v22, v22, 7, v23
	s_and_b64 s[18:19], vcc, s[18:19]
	v_cndmask_b32_e64 v22, v22, 0, s[18:19]
	v_or_b32_e32 v60, v22, v33
.LBB4_348:                              ;   in Loop: Header=BB4_264 Depth=3
	s_or_b64 exec, exec, s[50:51]
.LBB4_349:                              ;   in Loop: Header=BB4_264 Depth=3
	s_or_b64 exec, exec, s[48:49]
                                        ; implicit-def: $vgpr24
.LBB4_350:                              ;   in Loop: Header=BB4_264 Depth=3
	s_andn2_saveexec_b64 s[18:19], s[46:47]
; %bb.351:                              ;   in Loop: Header=BB4_264 Depth=3
	v_or_b32_sdwa v22, v24, s62 dst_sel:DWORD dst_unused:UNUSED_PAD src0_sel:BYTE_3 src1_sel:DWORD
	v_cmp_eq_u64_e32 vcc, 0, v[42:43]
	v_cndmask_b32_e32 v60, v22, v60, vcc
; %bb.352:                              ;   in Loop: Header=BB4_264 Depth=3
	s_or_b64 exec, exec, s[18:19]
	v_alignbit_b32 v42, v26, v27, v31
	v_cmp_ne_u16_sdwa vcc, v42, v43 src0_sel:BYTE_0 src1_sel:DWORD
	v_mov_b32_e32 v24, 0
	s_and_saveexec_b64 s[18:19], vcc
	s_cbranch_execz .LBB4_358
; %bb.353:                              ;   in Loop: Header=BB4_264 Depth=3
	v_cmp_ne_u16_sdwa vcc, v42, s61 src0_sel:BYTE_0 src1_sel:DWORD
	v_bfrev_b32_e32 v24, 1
	s_and_saveexec_b64 s[46:47], vcc
	s_cbranch_execz .LBB4_357
; %bb.354:                              ;   in Loop: Header=BB4_264 Depth=3
	v_and_b32_e32 v22, 0x7f, v42
	v_cmp_ne_u32_e32 vcc, s62, v22
	v_mov_b32_e32 v24, 0x7f800001
	s_and_saveexec_b64 s[48:49], vcc
	s_cbranch_execz .LBB4_356
; %bb.355:                              ;   in Loop: Header=BB4_264 Depth=3
	v_and_b32_e32 v23, 7, v42
	v_ffbh_u32_e32 v23, v23
	v_min_u32_e32 v23, 32, v23
	v_subrev_u32_e32 v25, 28, v23
	v_cmp_gt_u32_e32 vcc, 8, v22
	v_lshrrev_b32_e32 v24, 3, v22
	v_sub_u32_e32 v23, 29, v23
	v_cndmask_b32_e32 v22, 0, v25, vcc
	v_cndmask_b32_e32 v24, v24, v23, vcc
	v_lshlrev_b64 v[22:23], v22, v[42:43]
	v_lshlrev_b32_e32 v22, 20, v22
	v_lshlrev_b32_e32 v23, 24, v42
	v_and_b32_e32 v22, 0x700000, v22
	v_and_b32_e32 v23, 0x80000000, v23
	v_lshl_add_u32 v24, v24, 23, v47
	v_or3_b32 v24, v23, v24, v22
.LBB4_356:                              ;   in Loop: Header=BB4_264 Depth=3
	s_or_b64 exec, exec, s[48:49]
.LBB4_357:                              ;   in Loop: Header=BB4_264 Depth=3
	s_or_b64 exec, exec, s[46:47]
.LBB4_358:                              ;   in Loop: Header=BB4_264 Depth=3
	s_or_b64 exec, exec, s[18:19]
	v_mul_f32_e32 v27, v62, v24
	v_and_b32_sdwa v26, v27, s61 dst_sel:DWORD dst_unused:UNUSED_PAD src0_sel:BYTE_3 src1_sel:DWORD
	v_and_b32_e32 v22, 0x7f800000, v27
	v_mov_b32_e32 v23, v43
	v_and_b32_e32 v24, 0x7fffff, v27
	v_mov_b32_e32 v25, v43
	v_or_b32_e32 v33, 0x7e, v26
	v_cmp_ne_u64_e32 vcc, s[36:37], v[22:23]
	s_and_saveexec_b64 s[18:19], vcc
	s_xor_b64 s[46:47], exec, s[18:19]
	s_cbranch_execz .LBB4_368
; %bb.359:                              ;   in Loop: Header=BB4_264 Depth=3
	v_and_b32_e32 v22, 0x7fffffff, v27
	v_mov_b32_e32 v23, v43
	v_cmp_gt_u64_e32 vcc, s[38:39], v[22:23]
	s_and_saveexec_b64 s[48:49], vcc
	s_cbranch_execz .LBB4_367
; %bb.360:                              ;   in Loop: Header=BB4_264 Depth=3
	v_cmp_ne_u32_e32 vcc, 0, v27
	v_mov_b32_e32 v33, 0
	s_and_saveexec_b64 s[50:51], vcc
	s_cbranch_execz .LBB4_366
; %bb.361:                              ;   in Loop: Header=BB4_264 Depth=3
	v_bfe_u32 v22, v27, 23, 8
	v_sub_u32_e32 v27, 0x79, v22
	v_cmp_gt_u32_e32 vcc, s63, v22
	v_cndmask_b32_e32 v27, 0, v27, vcc
	v_cmp_eq_u32_e32 vcc, 0, v22
	v_cndmask_b32_e32 v27, v27, v6, vcc
	v_add_u32_e32 v23, 0xffffff81, v22
	v_add_u32_e32 v22, 20, v27
	v_or_b32_e32 v31, 0x800000, v24
	v_cndmask_b32_e32 v33, v23, v30, vcc
	v_lshlrev_b64 v[22:23], v22, -1
	v_cndmask_b32_e32 v24, v31, v24, vcc
	v_not_b32_e32 v22, v22
	v_and_b32_e32 v22, v24, v22
	v_add_u32_e32 v31, 19, v27
	v_lshrrev_b64 v[24:25], v27, v[24:25]
	v_not_b32_e32 v23, v23
	v_lshlrev_b64 v[36:37], v31, 1
	v_lshrrev_b32_e32 v31, 23, v24
	v_and_b32_e32 v23, 0, v23
	v_add3_u32 v33, v27, v33, v31
	v_bfe_u32 v27, v24, 20, 1
	v_add_u32_e32 v27, -1, v27
	v_cmp_eq_u64_e32 vcc, v[22:23], v[36:37]
	v_cndmask_b32_e32 v22, 0, v27, vcc
	v_add_u32_e32 v22, v22, v24
	v_and_b32_e32 v22, 0xfffff, v22
	v_add_co_u32_e32 v24, vcc, v22, v24
	v_add_u32_e32 v31, 6, v33
	v_addc_co_u32_e32 v25, vcc, 0, v25, vcc
	v_cmp_ne_u32_e32 vcc, 0, v31
                                        ; implicit-def: $vgpr27
	s_and_saveexec_b64 s[18:19], vcc
	s_xor_b64 s[18:19], exec, s[18:19]
; %bb.362:                              ;   in Loop: Header=BB4_264 Depth=3
	v_add_u32_e32 v22, 7, v33
	v_cmp_lt_u64_e32 vcc, s[40:41], v[24:25]
	v_cndmask_b32_e32 v27, v31, v22, vcc
	v_cndmask_b32_e64 v22, 0, 1, vcc
	v_lshrrev_b64 v[24:25], v22, v[24:25]
; %bb.363:                              ;   in Loop: Header=BB4_264 Depth=3
	s_andn2_saveexec_b64 s[18:19], s[18:19]
; %bb.364:                              ;   in Loop: Header=BB4_264 Depth=3
	v_bfe_u32 v27, v24, 23, 1
; %bb.365:                              ;   in Loop: Header=BB4_264 Depth=3
	s_or_b64 exec, exec, s[18:19]
	v_lshrrev_b64 v[22:23], 20, v[24:25]
	v_cmp_gt_i32_e32 vcc, 16, v27
	v_cndmask_b32_e32 v23, 0, v23, vcc
	v_cndmask_b32_e32 v22, 7, v22, vcc
	v_cmp_eq_u64_e64 s[18:19], 0, v[22:23]
	v_min_i32_e32 v23, 15, v27
	v_cmp_eq_u32_e32 vcc, 0, v27
	v_lshlrev_b32_e32 v23, 3, v23
	v_and_or_b32 v22, v22, 7, v23
	s_and_b64 s[18:19], vcc, s[18:19]
	v_cndmask_b32_e64 v22, v22, 0, s[18:19]
	v_or_b32_e32 v33, v22, v26
.LBB4_366:                              ;   in Loop: Header=BB4_264 Depth=3
	s_or_b64 exec, exec, s[50:51]
.LBB4_367:                              ;   in Loop: Header=BB4_264 Depth=3
	s_or_b64 exec, exec, s[48:49]
                                        ; implicit-def: $vgpr27
                                        ; implicit-def: $vgpr24_vgpr25
.LBB4_368:                              ;   in Loop: Header=BB4_264 Depth=3
	s_andn2_saveexec_b64 s[18:19], s[46:47]
; %bb.369:                              ;   in Loop: Header=BB4_264 Depth=3
	v_or_b32_sdwa v22, v27, s62 dst_sel:DWORD dst_unused:UNUSED_PAD src0_sel:BYTE_3 src1_sel:DWORD
	v_cmp_eq_u64_e32 vcc, 0, v[24:25]
	v_cndmask_b32_e32 v33, v22, v33, vcc
; %bb.370:                              ;   in Loop: Header=BB4_264 Depth=3
	s_or_b64 exec, exec, s[18:19]
	v_lshrrev_b16_e32 v24, 8, v42
	v_cmp_ne_u16_e32 vcc, 0, v24
	v_mov_b32_e32 v25, 0
	s_and_saveexec_b64 s[18:19], vcc
	s_cbranch_execz .LBB4_376
; %bb.371:                              ;   in Loop: Header=BB4_264 Depth=3
	v_cmp_ne_u16_e32 vcc, s61, v24
	v_bfrev_b32_e32 v25, 1
	s_and_saveexec_b64 s[46:47], vcc
	s_cbranch_execz .LBB4_375
; %bb.372:                              ;   in Loop: Header=BB4_264 Depth=3
	v_and_b32_e32 v22, 0x7f, v24
	v_cmp_ne_u32_e32 vcc, s62, v22
	v_mov_b32_e32 v25, 0x7f800001
	s_and_saveexec_b64 s[48:49], vcc
	s_cbranch_execz .LBB4_374
; %bb.373:                              ;   in Loop: Header=BB4_264 Depth=3
	v_and_b32_e32 v23, 7, v24
	v_ffbh_u32_e32 v25, v23
	v_min_u32_e32 v27, 32, v25
	v_subrev_u32_e32 v25, 28, v27
	v_lshlrev_b64 v[24:25], v25, v[24:25]
	v_lshrrev_b32_e32 v26, 3, v22
	v_sub_u32_e32 v25, 29, v27
	v_and_b32_e32 v24, 7, v24
	v_cmp_gt_u32_e32 vcc, 8, v22
	v_cndmask_b32_e32 v22, v26, v25, vcc
	v_cndmask_b32_e32 v23, v23, v24, vcc
	v_lshlrev_b32_e32 v24, 16, v42
	v_lshlrev_b32_e32 v23, 20, v23
	v_and_b32_e32 v24, 0x80000000, v24
	v_lshl_add_u32 v22, v22, 23, v47
	v_or3_b32 v25, v24, v22, v23
.LBB4_374:                              ;   in Loop: Header=BB4_264 Depth=3
	s_or_b64 exec, exec, s[48:49]
.LBB4_375:                              ;   in Loop: Header=BB4_264 Depth=3
	s_or_b64 exec, exec, s[46:47]
.LBB4_376:                              ;   in Loop: Header=BB4_264 Depth=3
	s_or_b64 exec, exec, s[18:19]
	v_mul_f32_e32 v27, v62, v25
	v_and_b32_sdwa v26, v27, s61 dst_sel:DWORD dst_unused:UNUSED_PAD src0_sel:BYTE_3 src1_sel:DWORD
	v_and_b32_e32 v22, 0x7f800000, v27
	v_mov_b32_e32 v23, v43
	v_and_b32_e32 v24, 0x7fffff, v27
	v_mov_b32_e32 v25, v43
	v_or_b32_e32 v31, 0x7e, v26
	v_cmp_ne_u64_e32 vcc, s[36:37], v[22:23]
	s_and_saveexec_b64 s[18:19], vcc
	s_xor_b64 s[46:47], exec, s[18:19]
	s_cbranch_execz .LBB4_386
; %bb.377:                              ;   in Loop: Header=BB4_264 Depth=3
	v_and_b32_e32 v22, 0x7fffffff, v27
	v_mov_b32_e32 v23, v43
	v_cmp_gt_u64_e32 vcc, s[38:39], v[22:23]
	s_and_saveexec_b64 s[48:49], vcc
	s_cbranch_execz .LBB4_385
; %bb.378:                              ;   in Loop: Header=BB4_264 Depth=3
	v_cmp_ne_u32_e32 vcc, 0, v27
	v_mov_b32_e32 v31, 0
	s_and_saveexec_b64 s[50:51], vcc
	s_cbranch_execz .LBB4_384
; %bb.379:                              ;   in Loop: Header=BB4_264 Depth=3
	v_bfe_u32 v22, v27, 23, 8
	v_sub_u32_e32 v27, 0x79, v22
	v_cmp_gt_u32_e32 vcc, s63, v22
	v_cndmask_b32_e32 v27, 0, v27, vcc
	v_cmp_eq_u32_e32 vcc, 0, v22
	v_cndmask_b32_e32 v27, v27, v6, vcc
	v_add_u32_e32 v23, 0xffffff81, v22
	v_add_u32_e32 v22, 20, v27
	v_or_b32_e32 v31, 0x800000, v24
	v_cndmask_b32_e32 v50, v23, v30, vcc
	v_lshlrev_b64 v[22:23], v22, -1
	v_cndmask_b32_e32 v24, v31, v24, vcc
	v_not_b32_e32 v22, v22
	v_and_b32_e32 v22, v24, v22
	v_add_u32_e32 v31, 19, v27
	v_lshrrev_b64 v[24:25], v27, v[24:25]
	v_not_b32_e32 v23, v23
	v_lshlrev_b64 v[36:37], v31, 1
	v_lshrrev_b32_e32 v31, 23, v24
	v_and_b32_e32 v23, 0, v23
	v_add3_u32 v44, v27, v50, v31
	v_bfe_u32 v27, v24, 20, 1
	v_add_u32_e32 v27, -1, v27
	v_cmp_eq_u64_e32 vcc, v[22:23], v[36:37]
	v_cndmask_b32_e32 v22, 0, v27, vcc
	v_add_u32_e32 v22, v22, v24
	v_and_b32_e32 v22, 0xfffff, v22
	v_add_co_u32_e32 v24, vcc, v22, v24
	v_add_u32_e32 v31, 6, v44
	v_addc_co_u32_e32 v25, vcc, 0, v25, vcc
	v_cmp_ne_u32_e32 vcc, 0, v31
                                        ; implicit-def: $vgpr27
	s_and_saveexec_b64 s[18:19], vcc
	s_xor_b64 s[18:19], exec, s[18:19]
; %bb.380:                              ;   in Loop: Header=BB4_264 Depth=3
	v_add_u32_e32 v22, 7, v44
	v_cmp_lt_u64_e32 vcc, s[40:41], v[24:25]
	v_cndmask_b32_e32 v27, v31, v22, vcc
	v_cndmask_b32_e64 v22, 0, 1, vcc
	v_lshrrev_b64 v[24:25], v22, v[24:25]
; %bb.381:                              ;   in Loop: Header=BB4_264 Depth=3
	s_andn2_saveexec_b64 s[18:19], s[18:19]
; %bb.382:                              ;   in Loop: Header=BB4_264 Depth=3
	v_bfe_u32 v27, v24, 23, 1
; %bb.383:                              ;   in Loop: Header=BB4_264 Depth=3
	s_or_b64 exec, exec, s[18:19]
	v_lshrrev_b64 v[22:23], 20, v[24:25]
	v_cmp_gt_i32_e32 vcc, 16, v27
	v_cndmask_b32_e32 v23, 0, v23, vcc
	v_cndmask_b32_e32 v22, 7, v22, vcc
	v_cmp_eq_u64_e64 s[18:19], 0, v[22:23]
	v_min_i32_e32 v23, 15, v27
	v_lshlrev_b32_e32 v23, 3, v23
	v_cmp_eq_u32_e32 vcc, 0, v27
	v_and_b32_e32 v23, 0xf8, v23
	v_and_or_b32 v22, v22, 7, v23
	s_and_b64 s[18:19], vcc, s[18:19]
	v_cndmask_b32_e64 v22, v22, 0, s[18:19]
	v_or_b32_e32 v31, v22, v26
.LBB4_384:                              ;   in Loop: Header=BB4_264 Depth=3
	s_or_b64 exec, exec, s[50:51]
.LBB4_385:                              ;   in Loop: Header=BB4_264 Depth=3
	s_or_b64 exec, exec, s[48:49]
                                        ; implicit-def: $vgpr27
                                        ; implicit-def: $vgpr24_vgpr25
.LBB4_386:                              ;   in Loop: Header=BB4_264 Depth=3
	s_andn2_saveexec_b64 s[18:19], s[46:47]
; %bb.387:                              ;   in Loop: Header=BB4_264 Depth=3
	v_or_b32_sdwa v22, v27, s62 dst_sel:DWORD dst_unused:UNUSED_PAD src0_sel:BYTE_3 src1_sel:DWORD
	v_cmp_eq_u64_e32 vcc, 0, v[24:25]
	v_cndmask_b32_e32 v31, v22, v31, vcc
; %bb.388:                              ;   in Loop: Header=BB4_264 Depth=3
	s_or_b64 exec, exec, s[18:19]
	v_and_b32_sdwa v22, v42, s60 dst_sel:DWORD dst_unused:UNUSED_PAD src0_sel:WORD_1 src1_sel:DWORD
	v_lshrrev_b32_e32 v24, 16, v42
	v_cmp_ne_u16_e32 vcc, 0, v22
	v_mov_b32_e32 v25, 0
	s_and_saveexec_b64 s[18:19], vcc
	s_cbranch_execz .LBB4_394
; %bb.389:                              ;   in Loop: Header=BB4_264 Depth=3
	v_cmp_ne_u16_e32 vcc, s61, v22
	v_bfrev_b32_e32 v25, 1
	s_and_saveexec_b64 s[46:47], vcc
	s_cbranch_execz .LBB4_393
; %bb.390:                              ;   in Loop: Header=BB4_264 Depth=3
	v_bfe_u32 v22, v42, 16, 7
	v_cmp_ne_u32_e32 vcc, s62, v22
	v_mov_b32_e32 v25, 0x7f800001
	s_and_saveexec_b64 s[48:49], vcc
	s_cbranch_execz .LBB4_392
; %bb.391:                              ;   in Loop: Header=BB4_264 Depth=3
	v_and_b32_e32 v23, 7, v24
	v_ffbh_u32_e32 v25, v23
	v_min_u32_e32 v27, 32, v25
	v_subrev_u32_e32 v25, 28, v27
	v_lshlrev_b64 v[24:25], v25, v[24:25]
	v_lshrrev_b32_e32 v26, 3, v22
	v_sub_u32_e32 v25, 29, v27
	v_and_b32_e32 v24, 7, v24
	v_cmp_gt_u32_e32 vcc, 8, v22
	v_cndmask_b32_e32 v22, v26, v25, vcc
	v_cndmask_b32_e32 v23, v23, v24, vcc
	v_lshlrev_b32_sdwa v24, v7, v42 dst_sel:DWORD dst_unused:UNUSED_PAD src0_sel:DWORD src1_sel:WORD_1
	v_lshlrev_b32_e32 v23, 20, v23
	v_and_b32_e32 v24, 0x80000000, v24
	v_lshl_add_u32 v22, v22, 23, v47
	v_or3_b32 v25, v24, v22, v23
.LBB4_392:                              ;   in Loop: Header=BB4_264 Depth=3
	s_or_b64 exec, exec, s[48:49]
.LBB4_393:                              ;   in Loop: Header=BB4_264 Depth=3
	s_or_b64 exec, exec, s[46:47]
.LBB4_394:                              ;   in Loop: Header=BB4_264 Depth=3
	s_or_b64 exec, exec, s[18:19]
	v_mul_f32_e32 v44, v62, v25
	v_and_b32_sdwa v27, v44, s61 dst_sel:DWORD dst_unused:UNUSED_PAD src0_sel:BYTE_3 src1_sel:DWORD
	v_and_b32_e32 v22, 0x7f800000, v44
	v_mov_b32_e32 v23, v43
	v_and_b32_e32 v24, 0x7fffff, v44
	v_mov_b32_e32 v25, v43
	v_or_b32_e32 v26, 0x7e, v27
	v_cmp_ne_u64_e32 vcc, s[36:37], v[22:23]
	s_and_saveexec_b64 s[18:19], vcc
	s_xor_b64 s[46:47], exec, s[18:19]
	s_cbranch_execz .LBB4_404
; %bb.395:                              ;   in Loop: Header=BB4_264 Depth=3
	v_and_b32_e32 v22, 0x7fffffff, v44
	v_mov_b32_e32 v23, v43
	v_cmp_gt_u64_e32 vcc, s[38:39], v[22:23]
	s_and_saveexec_b64 s[48:49], vcc
	s_cbranch_execz .LBB4_403
; %bb.396:                              ;   in Loop: Header=BB4_264 Depth=3
	v_cmp_ne_u32_e32 vcc, 0, v44
	v_mov_b32_e32 v26, 0
	s_and_saveexec_b64 s[50:51], vcc
	s_cbranch_execz .LBB4_402
; %bb.397:                              ;   in Loop: Header=BB4_264 Depth=3
	v_bfe_u32 v22, v44, 23, 8
	v_sub_u32_e32 v26, 0x79, v22
	v_cmp_gt_u32_e32 vcc, s63, v22
	v_cndmask_b32_e32 v26, 0, v26, vcc
	v_cmp_eq_u32_e32 vcc, 0, v22
	v_cndmask_b32_e32 v26, v26, v6, vcc
	v_add_u32_e32 v23, 0xffffff81, v22
	v_add_u32_e32 v22, 20, v26
	v_or_b32_e32 v36, 0x800000, v24
	v_cndmask_b32_e32 v44, v23, v30, vcc
	v_lshlrev_b64 v[22:23], v22, -1
	v_cndmask_b32_e32 v24, v36, v24, vcc
	v_not_b32_e32 v22, v22
	v_not_b32_e32 v23, v23
	v_and_b32_e32 v36, v24, v22
	v_add_u32_e32 v22, 19, v26
	v_lshrrev_b64 v[24:25], v26, v[24:25]
	v_and_b32_e32 v37, 0, v23
	v_lshlrev_b64 v[50:51], v22, 1
	v_bfe_u32 v23, v24, 20, 1
	v_add_u32_e32 v23, -1, v23
	v_cmp_eq_u64_e32 vcc, v[36:37], v[50:51]
	v_cndmask_b32_e32 v23, 0, v23, vcc
	v_add_u32_e32 v23, v23, v24
	v_lshrrev_b32_e32 v22, 23, v24
	v_and_b32_e32 v23, 0xfffff, v23
	v_add3_u32 v22, v26, v44, v22
	v_add_co_u32_e32 v24, vcc, v23, v24
	v_add_u32_e32 v44, 6, v22
	v_addc_co_u32_e32 v25, vcc, 0, v25, vcc
	v_cmp_ne_u32_e32 vcc, 0, v44
                                        ; implicit-def: $vgpr26
	s_and_saveexec_b64 s[18:19], vcc
	s_xor_b64 s[18:19], exec, s[18:19]
; %bb.398:                              ;   in Loop: Header=BB4_264 Depth=3
	v_add_u32_e32 v22, 7, v22
	v_cmp_lt_u64_e32 vcc, s[40:41], v[24:25]
	v_cndmask_b32_e32 v26, v44, v22, vcc
	v_cndmask_b32_e64 v22, 0, 1, vcc
	v_lshrrev_b64 v[24:25], v22, v[24:25]
; %bb.399:                              ;   in Loop: Header=BB4_264 Depth=3
	s_andn2_saveexec_b64 s[18:19], s[18:19]
; %bb.400:                              ;   in Loop: Header=BB4_264 Depth=3
	v_bfe_u32 v26, v24, 23, 1
; %bb.401:                              ;   in Loop: Header=BB4_264 Depth=3
	s_or_b64 exec, exec, s[18:19]
	v_lshrrev_b64 v[22:23], 20, v[24:25]
	v_cmp_gt_i32_e32 vcc, 16, v26
	v_cndmask_b32_e32 v23, 0, v23, vcc
	v_cndmask_b32_e32 v22, 7, v22, vcc
	v_cmp_eq_u64_e64 s[18:19], 0, v[22:23]
	v_min_i32_e32 v23, 15, v26
	v_lshlrev_b32_e32 v23, 3, v23
	v_cmp_eq_u32_e32 vcc, 0, v26
	v_and_b32_e32 v23, 0xf8, v23
	v_and_or_b32 v22, v22, 7, v23
	s_and_b64 s[18:19], vcc, s[18:19]
	v_cndmask_b32_e64 v22, v22, 0, s[18:19]
	v_or_b32_e32 v26, v22, v27
.LBB4_402:                              ;   in Loop: Header=BB4_264 Depth=3
	s_or_b64 exec, exec, s[50:51]
.LBB4_403:                              ;   in Loop: Header=BB4_264 Depth=3
	s_or_b64 exec, exec, s[48:49]
                                        ; implicit-def: $vgpr44
                                        ; implicit-def: $vgpr24_vgpr25
.LBB4_404:                              ;   in Loop: Header=BB4_264 Depth=3
	s_andn2_saveexec_b64 s[18:19], s[46:47]
; %bb.405:                              ;   in Loop: Header=BB4_264 Depth=3
	v_or_b32_sdwa v22, v44, s62 dst_sel:DWORD dst_unused:UNUSED_PAD src0_sel:BYTE_3 src1_sel:DWORD
	v_cmp_eq_u64_e32 vcc, 0, v[24:25]
	v_cndmask_b32_e32 v26, v22, v26, vcc
; %bb.406:                              ;   in Loop: Header=BB4_264 Depth=3
	s_or_b64 exec, exec, s[18:19]
	v_cmp_lt_u32_e32 vcc, s64, v42
	v_mov_b32_e32 v25, 0
	s_and_saveexec_b64 s[18:19], vcc
	s_cbranch_execz .LBB4_412
; %bb.407:                              ;   in Loop: Header=BB4_264 Depth=3
	v_lshrrev_b32_e32 v24, 24, v42
	v_cmp_ne_u32_sdwa vcc, v42, s61 src0_sel:BYTE_3 src1_sel:DWORD
	v_bfrev_b32_e32 v25, 1
	s_and_saveexec_b64 s[46:47], vcc
	s_cbranch_execz .LBB4_411
; %bb.408:                              ;   in Loop: Header=BB4_264 Depth=3
	v_bfe_u32 v22, v42, 24, 7
	v_cmp_ne_u32_e32 vcc, s62, v22
	v_mov_b32_e32 v25, 0x7f800001
	s_and_saveexec_b64 s[48:49], vcc
	s_cbranch_execz .LBB4_410
; %bb.409:                              ;   in Loop: Header=BB4_264 Depth=3
	v_and_b32_e32 v23, 7, v24
	v_ffbh_u32_e32 v25, v23
	v_min_u32_e32 v36, 32, v25
	v_subrev_u32_e32 v25, 28, v36
	v_lshlrev_b64 v[24:25], v25, v[24:25]
	v_lshrrev_b32_e32 v27, 3, v22
	v_sub_u32_e32 v25, 29, v36
	v_and_b32_e32 v24, 7, v24
	v_cmp_gt_u32_e32 vcc, 8, v22
	v_cndmask_b32_e32 v22, v27, v25, vcc
	v_cndmask_b32_e32 v23, v23, v24, vcc
	v_lshlrev_b32_sdwa v24, v7, v42 dst_sel:DWORD dst_unused:UNUSED_PAD src0_sel:DWORD src1_sel:BYTE_3
	v_lshlrev_b32_e32 v23, 20, v23
	v_and_b32_e32 v24, 0x80000000, v24
	v_lshl_add_u32 v22, v22, 23, v47
	v_or3_b32 v25, v24, v22, v23
.LBB4_410:                              ;   in Loop: Header=BB4_264 Depth=3
	s_or_b64 exec, exec, s[48:49]
.LBB4_411:                              ;   in Loop: Header=BB4_264 Depth=3
	s_or_b64 exec, exec, s[46:47]
.LBB4_412:                              ;   in Loop: Header=BB4_264 Depth=3
	s_or_b64 exec, exec, s[18:19]
	v_mul_f32_e32 v24, v62, v25
	v_and_b32_sdwa v44, v24, s61 dst_sel:DWORD dst_unused:UNUSED_PAD src0_sel:BYTE_3 src1_sel:DWORD
	v_and_b32_e32 v22, 0x7f800000, v24
	v_mov_b32_e32 v23, v43
	v_and_b32_e32 v42, 0x7fffff, v24
	v_or_b32_e32 v27, 0x7e, v44
	v_cmp_ne_u64_e32 vcc, s[36:37], v[22:23]
	s_and_saveexec_b64 s[18:19], vcc
	s_xor_b64 s[46:47], exec, s[18:19]
	s_cbranch_execz .LBB4_422
; %bb.413:                              ;   in Loop: Header=BB4_264 Depth=3
	v_and_b32_e32 v22, 0x7fffffff, v24
	v_mov_b32_e32 v23, v43
	v_cmp_gt_u64_e32 vcc, s[38:39], v[22:23]
	s_and_saveexec_b64 s[48:49], vcc
	s_cbranch_execz .LBB4_421
; %bb.414:                              ;   in Loop: Header=BB4_264 Depth=3
	v_cmp_ne_u32_e32 vcc, 0, v24
	v_mov_b32_e32 v27, 0
	s_and_saveexec_b64 s[50:51], vcc
	s_cbranch_execz .LBB4_420
; %bb.415:                              ;   in Loop: Header=BB4_264 Depth=3
	v_bfe_u32 v22, v24, 23, 8
	v_sub_u32_e32 v24, 0x79, v22
	v_cmp_gt_u32_e32 vcc, s63, v22
	v_cndmask_b32_e32 v24, 0, v24, vcc
	v_cmp_eq_u32_e32 vcc, 0, v22
	v_cndmask_b32_e32 v38, v24, v6, vcc
	v_add_u32_e32 v23, 0xffffff81, v22
	v_add_u32_e32 v22, 20, v38
	v_or_b32_e32 v25, 0x800000, v42
	v_cndmask_b32_e32 v27, v23, v30, vcc
	v_lshlrev_b64 v[22:23], v22, -1
	v_cndmask_b32_e32 v42, v25, v42, vcc
	v_not_b32_e32 v22, v22
	v_not_b32_e32 v23, v23
	v_and_b32_e32 v24, v42, v22
	v_add_u32_e32 v22, 19, v38
	v_lshrrev_b64 v[50:51], v38, v[42:43]
	v_and_b32_e32 v25, 0, v23
	v_lshlrev_b64 v[36:37], v22, 1
	v_bfe_u32 v23, v50, 20, 1
	v_add_u32_e32 v23, -1, v23
	v_cmp_eq_u64_e32 vcc, v[24:25], v[36:37]
	v_cndmask_b32_e32 v23, 0, v23, vcc
	v_add_u32_e32 v23, v23, v50
	v_lshrrev_b32_e32 v22, 23, v50
	v_and_b32_e32 v23, 0xfffff, v23
	v_add3_u32 v22, v38, v27, v22
	v_add_co_u32_e32 v24, vcc, v23, v50
	v_add_u32_e32 v42, 6, v22
	v_addc_co_u32_e32 v25, vcc, 0, v51, vcc
	v_cmp_ne_u32_e32 vcc, 0, v42
                                        ; implicit-def: $vgpr27
	s_and_saveexec_b64 s[18:19], vcc
	s_xor_b64 s[18:19], exec, s[18:19]
; %bb.416:                              ;   in Loop: Header=BB4_264 Depth=3
	v_add_u32_e32 v22, 7, v22
	v_cmp_lt_u64_e32 vcc, s[40:41], v[24:25]
	v_cndmask_b32_e32 v27, v42, v22, vcc
	v_cndmask_b32_e64 v22, 0, 1, vcc
	v_lshrrev_b64 v[24:25], v22, v[24:25]
; %bb.417:                              ;   in Loop: Header=BB4_264 Depth=3
	s_andn2_saveexec_b64 s[18:19], s[18:19]
; %bb.418:                              ;   in Loop: Header=BB4_264 Depth=3
	v_bfe_u32 v27, v24, 23, 1
; %bb.419:                              ;   in Loop: Header=BB4_264 Depth=3
	s_or_b64 exec, exec, s[18:19]
	v_lshrrev_b64 v[22:23], 20, v[24:25]
	v_cmp_gt_i32_e32 vcc, 16, v27
	v_cndmask_b32_e32 v23, 0, v23, vcc
	v_cndmask_b32_e32 v22, 7, v22, vcc
	v_cmp_eq_u64_e64 s[18:19], 0, v[22:23]
	v_min_i32_e32 v23, 15, v27
	v_lshlrev_b32_e32 v23, 3, v23
	v_cmp_eq_u32_e32 vcc, 0, v27
	v_and_b32_e32 v23, 0xf8, v23
	v_and_or_b32 v22, v22, 7, v23
	s_and_b64 s[18:19], vcc, s[18:19]
	v_cndmask_b32_e64 v22, v22, 0, s[18:19]
	v_or_b32_e32 v27, v22, v44
.LBB4_420:                              ;   in Loop: Header=BB4_264 Depth=3
	s_or_b64 exec, exec, s[50:51]
.LBB4_421:                              ;   in Loop: Header=BB4_264 Depth=3
	s_or_b64 exec, exec, s[48:49]
                                        ; implicit-def: $vgpr24
.LBB4_422:                              ;   in Loop: Header=BB4_264 Depth=3
	s_andn2_saveexec_b64 s[18:19], s[46:47]
; %bb.423:                              ;   in Loop: Header=BB4_264 Depth=3
	v_or_b32_sdwa v22, v24, s62 dst_sel:DWORD dst_unused:UNUSED_PAD src0_sel:BYTE_3 src1_sel:DWORD
	v_cmp_eq_u64_e32 vcc, 0, v[42:43]
	v_cndmask_b32_e32 v27, v22, v27, vcc
; %bb.424:                              ;   in Loop: Header=BB4_264 Depth=3
	s_or_b64 exec, exec, s[18:19]
	s_waitcnt vmcnt(0)
	v_cmp_ne_u16_sdwa vcc, v16, v43 src0_sel:BYTE_0 src1_sel:DWORD
	v_mov_b32_e32 v25, 0
	v_mov_b32_e32 v24, 0
	s_and_saveexec_b64 s[18:19], vcc
	s_cbranch_execz .LBB4_430
; %bb.425:                              ;   in Loop: Header=BB4_264 Depth=3
	v_cmp_ne_u16_sdwa vcc, v16, s61 src0_sel:BYTE_0 src1_sel:DWORD
	v_bfrev_b32_e32 v24, 1
	s_and_saveexec_b64 s[46:47], vcc
	s_cbranch_execz .LBB4_429
; %bb.426:                              ;   in Loop: Header=BB4_264 Depth=3
	v_and_b32_e32 v22, 0x7f, v16
	v_cmp_ne_u32_e32 vcc, s62, v22
	v_mov_b32_e32 v24, 0x7f800001
	s_and_saveexec_b64 s[48:49], vcc
	s_cbranch_execz .LBB4_428
; %bb.427:                              ;   in Loop: Header=BB4_264 Depth=3
	v_and_b32_e32 v23, 7, v16
	v_ffbh_u32_e32 v23, v23
	v_min_u32_e32 v23, 32, v23
	v_subrev_u32_e32 v36, 28, v23
	v_cmp_gt_u32_e32 vcc, 8, v22
	v_lshrrev_b32_e32 v24, 3, v22
	v_sub_u32_e32 v23, 29, v23
	v_cndmask_b32_e32 v22, 0, v36, vcc
	v_cndmask_b32_e32 v24, v24, v23, vcc
	v_lshlrev_b64 v[22:23], v22, v[16:17]
	v_lshlrev_b32_e32 v17, 20, v22
	v_lshlrev_b32_e32 v22, 24, v16
	v_and_b32_e32 v17, 0x700000, v17
	v_and_b32_e32 v22, 0x80000000, v22
	v_lshl_add_u32 v23, v24, 23, v47
	v_or3_b32 v24, v22, v23, v17
.LBB4_428:                              ;   in Loop: Header=BB4_264 Depth=3
	s_or_b64 exec, exec, s[48:49]
.LBB4_429:                              ;   in Loop: Header=BB4_264 Depth=3
	s_or_b64 exec, exec, s[46:47]
.LBB4_430:                              ;   in Loop: Header=BB4_264 Depth=3
	s_or_b64 exec, exec, s[18:19]
	v_lshlrev_b32_e32 v17, 8, v61
	v_cmp_ne_u16_sdwa vcc, v1, v43 src0_sel:BYTE_0 src1_sel:DWORD
	s_and_saveexec_b64 s[18:19], vcc
	s_cbranch_execz .LBB4_436
; %bb.431:                              ;   in Loop: Header=BB4_264 Depth=3
	v_cmp_ne_u16_sdwa vcc, v1, s61 src0_sel:BYTE_0 src1_sel:DWORD
	v_bfrev_b32_e32 v25, 1
	s_and_saveexec_b64 s[46:47], vcc
	s_cbranch_execz .LBB4_435
; %bb.432:                              ;   in Loop: Header=BB4_264 Depth=3
	v_and_b32_e32 v22, 0x7f, v1
	v_cmp_ne_u32_e32 vcc, s62, v22
	v_mov_b32_e32 v25, 0x7f800001
	s_and_saveexec_b64 s[48:49], vcc
	s_cbranch_execz .LBB4_434
; %bb.433:                              ;   in Loop: Header=BB4_264 Depth=3
	v_and_b32_e32 v23, 7, v1
	v_ffbh_u32_e32 v23, v23
	v_min_u32_e32 v23, 32, v23
	v_subrev_u32_e32 v37, 28, v23
	v_cmp_gt_u32_e32 vcc, 8, v22
	v_lshrrev_b32_e32 v25, 3, v22
	v_perm_b32 v36, v17, v1, s65
	v_sub_u32_e32 v23, 29, v23
	v_cndmask_b32_e32 v22, 0, v37, vcc
	v_cndmask_b32_e32 v25, v25, v23, vcc
	v_lshlrev_b64 v[22:23], v22, v[36:37]
	v_lshlrev_b32_e32 v22, 20, v22
	v_lshlrev_b32_e32 v1, 24, v1
	v_and_b32_e32 v22, 0x700000, v22
	v_and_b32_e32 v1, 0x80000000, v1
	v_lshl_add_u32 v23, v25, 23, v47
	v_or3_b32 v25, v1, v23, v22
.LBB4_434:                              ;   in Loop: Header=BB4_264 Depth=3
	s_or_b64 exec, exec, s[48:49]
.LBB4_435:                              ;   in Loop: Header=BB4_264 Depth=3
	s_or_b64 exec, exec, s[46:47]
.LBB4_436:                              ;   in Loop: Header=BB4_264 Depth=3
	s_or_b64 exec, exec, s[18:19]
	v_add_f32_e32 v24, v24, v25
	v_and_b32_sdwa v44, v24, s61 dst_sel:DWORD dst_unused:UNUSED_PAD src0_sel:BYTE_3 src1_sel:DWORD
	v_and_b32_e32 v22, 0x7f800000, v24
	v_mov_b32_e32 v23, v43
	v_and_b32_e32 v42, 0x7fffff, v24
	v_or_b32_e32 v1, 0x7e, v44
	v_cmp_ne_u64_e32 vcc, s[36:37], v[22:23]
	s_and_saveexec_b64 s[18:19], vcc
	s_xor_b64 s[46:47], exec, s[18:19]
	s_cbranch_execz .LBB4_446
; %bb.437:                              ;   in Loop: Header=BB4_264 Depth=3
	v_and_b32_e32 v22, 0x7fffffff, v24
	v_mov_b32_e32 v23, v43
	v_cmp_gt_u64_e32 vcc, s[38:39], v[22:23]
	s_and_saveexec_b64 s[48:49], vcc
	s_cbranch_execz .LBB4_445
; %bb.438:                              ;   in Loop: Header=BB4_264 Depth=3
	v_cmp_ne_u32_e32 vcc, 0, v24
	v_mov_b32_e32 v1, 0
	s_and_saveexec_b64 s[50:51], vcc
	s_cbranch_execz .LBB4_444
; %bb.439:                              ;   in Loop: Header=BB4_264 Depth=3
	v_bfe_u32 v1, v24, 23, 8
	v_sub_u32_e32 v23, 0x79, v1
	v_cmp_gt_u32_e32 vcc, s63, v1
	v_cndmask_b32_e32 v23, 0, v23, vcc
	v_cmp_eq_u32_e32 vcc, 0, v1
	v_add_u32_e32 v22, 0xffffff81, v1
	v_cndmask_b32_e32 v38, v23, v6, vcc
	v_cndmask_b32_e32 v1, v22, v30, vcc
	v_add_u32_e32 v22, 20, v38
	v_or_b32_e32 v24, 0x800000, v42
	v_lshlrev_b64 v[22:23], v22, -1
	v_cndmask_b32_e32 v42, v24, v42, vcc
	v_not_b32_e32 v22, v22
	v_and_b32_e32 v24, v42, v22
	v_add_u32_e32 v22, 19, v38
	v_lshrrev_b64 v[50:51], v38, v[42:43]
	v_not_b32_e32 v23, v23
	v_lshlrev_b64 v[36:37], v22, 1
	v_lshrrev_b32_e32 v22, 23, v50
	v_and_b32_e32 v25, 0, v23
	v_add3_u32 v22, v38, v1, v22
	v_bfe_u32 v1, v50, 20, 1
	v_add_u32_e32 v1, -1, v1
	v_cmp_eq_u64_e32 vcc, v[24:25], v[36:37]
	v_cndmask_b32_e32 v1, 0, v1, vcc
	v_add_u32_e32 v1, v1, v50
	v_and_b32_e32 v1, 0xfffff, v1
	v_add_co_u32_e32 v24, vcc, v1, v50
	v_add_u32_e32 v42, 6, v22
	v_addc_co_u32_e32 v25, vcc, 0, v51, vcc
	v_cmp_ne_u32_e32 vcc, 0, v42
                                        ; implicit-def: $vgpr1
	s_and_saveexec_b64 s[18:19], vcc
	s_xor_b64 s[18:19], exec, s[18:19]
; %bb.440:                              ;   in Loop: Header=BB4_264 Depth=3
	v_cmp_lt_u64_e32 vcc, s[40:41], v[24:25]
	v_add_u32_e32 v1, 7, v22
	v_cndmask_b32_e64 v22, 0, 1, vcc
	v_cndmask_b32_e32 v1, v42, v1, vcc
	v_lshrrev_b64 v[24:25], v22, v[24:25]
; %bb.441:                              ;   in Loop: Header=BB4_264 Depth=3
	s_andn2_saveexec_b64 s[18:19], s[18:19]
; %bb.442:                              ;   in Loop: Header=BB4_264 Depth=3
	v_bfe_u32 v1, v24, 23, 1
; %bb.443:                              ;   in Loop: Header=BB4_264 Depth=3
	s_or_b64 exec, exec, s[18:19]
	v_lshrrev_b64 v[22:23], 20, v[24:25]
	v_cmp_gt_i32_e32 vcc, 16, v1
	v_cndmask_b32_e32 v23, 0, v23, vcc
	v_cndmask_b32_e32 v22, 7, v22, vcc
	v_cmp_eq_u32_e32 vcc, 0, v1
	v_min_i32_e32 v1, 15, v1
	v_cmp_eq_u64_e64 s[18:19], 0, v[22:23]
	v_lshlrev_b32_e32 v1, 3, v1
	v_and_or_b32 v1, v22, 7, v1
	s_and_b64 s[18:19], vcc, s[18:19]
	v_cndmask_b32_e64 v1, v1, 0, s[18:19]
	v_or_b32_e32 v1, v1, v44
.LBB4_444:                              ;   in Loop: Header=BB4_264 Depth=3
	s_or_b64 exec, exec, s[50:51]
.LBB4_445:                              ;   in Loop: Header=BB4_264 Depth=3
	s_or_b64 exec, exec, s[48:49]
                                        ; implicit-def: $vgpr24
.LBB4_446:                              ;   in Loop: Header=BB4_264 Depth=3
	s_andn2_saveexec_b64 s[18:19], s[46:47]
; %bb.447:                              ;   in Loop: Header=BB4_264 Depth=3
	v_or_b32_sdwa v22, v24, s62 dst_sel:DWORD dst_unused:UNUSED_PAD src0_sel:BYTE_3 src1_sel:DWORD
	v_cmp_eq_u64_e32 vcc, 0, v[42:43]
	v_cndmask_b32_e32 v1, v22, v1, vcc
; %bb.448:                              ;   in Loop: Header=BB4_264 Depth=3
	s_or_b64 exec, exec, s[18:19]
	v_lshrrev_b16_e32 v24, 8, v16
	v_cmp_ne_u16_e32 vcc, 0, v24
	v_mov_b32_e32 v25, 0
	v_mov_b32_e32 v42, 0
	s_and_saveexec_b64 s[18:19], vcc
	s_cbranch_execz .LBB4_454
; %bb.449:                              ;   in Loop: Header=BB4_264 Depth=3
	v_cmp_ne_u16_e32 vcc, s61, v24
	v_bfrev_b32_e32 v42, 1
	s_and_saveexec_b64 s[46:47], vcc
	s_cbranch_execz .LBB4_453
; %bb.450:                              ;   in Loop: Header=BB4_264 Depth=3
	v_and_b32_e32 v22, 0x7f, v24
	v_cmp_ne_u32_e32 vcc, s62, v22
	v_mov_b32_e32 v42, 0x7f800001
	s_and_saveexec_b64 s[48:49], vcc
	s_cbranch_execz .LBB4_452
; %bb.451:                              ;   in Loop: Header=BB4_264 Depth=3
	v_and_b32_e32 v23, 7, v24
	v_ffbh_u32_e32 v36, v23
	v_min_u32_e32 v39, 32, v36
	v_subrev_u32_e32 v36, 28, v39
	v_lshlrev_b64 v[36:37], v36, v[24:25]
	v_lshrrev_b32_e32 v38, 3, v22
	v_sub_u32_e32 v24, 29, v39
	v_and_b32_e32 v36, 7, v36
	v_cmp_gt_u32_e32 vcc, 8, v22
	v_cndmask_b32_e32 v22, v38, v24, vcc
	v_cndmask_b32_e32 v23, v23, v36, vcc
	v_lshlrev_b32_e32 v24, 16, v16
	v_lshlrev_b32_e32 v23, 20, v23
	v_and_b32_e32 v24, 0x80000000, v24
	v_lshl_add_u32 v22, v22, 23, v47
	v_or3_b32 v42, v24, v22, v23
.LBB4_452:                              ;   in Loop: Header=BB4_264 Depth=3
	s_or_b64 exec, exec, s[48:49]
.LBB4_453:                              ;   in Loop: Header=BB4_264 Depth=3
	s_or_b64 exec, exec, s[46:47]
.LBB4_454:                              ;   in Loop: Header=BB4_264 Depth=3
	s_or_b64 exec, exec, s[18:19]
	v_lshrrev_b16_e32 v24, 8, v17
	v_cmp_ne_u16_e32 vcc, 0, v24
	s_and_saveexec_b64 s[18:19], vcc
	s_cbranch_execz .LBB4_460
; %bb.455:                              ;   in Loop: Header=BB4_264 Depth=3
	v_cmp_ne_u16_e32 vcc, s61, v24
	v_bfrev_b32_e32 v25, 1
	s_and_saveexec_b64 s[46:47], vcc
	s_cbranch_execz .LBB4_459
; %bb.456:                              ;   in Loop: Header=BB4_264 Depth=3
	v_and_b32_e32 v22, 0x7f, v24
	v_cmp_ne_u32_e32 vcc, s62, v22
	v_mov_b32_e32 v25, 0x7f800001
	s_and_saveexec_b64 s[48:49], vcc
	s_cbranch_execz .LBB4_458
; %bb.457:                              ;   in Loop: Header=BB4_264 Depth=3
	v_and_b32_e32 v23, 7, v24
	v_ffbh_u32_e32 v25, v23
	v_min_u32_e32 v37, 32, v25
	v_subrev_u32_e32 v25, 28, v37
	v_lshlrev_b64 v[24:25], v25, v[24:25]
	v_lshrrev_b32_e32 v36, 3, v22
	v_sub_u32_e32 v25, 29, v37
	v_and_b32_e32 v24, 7, v24
	v_cmp_gt_u32_e32 vcc, 8, v22
	v_cndmask_b32_e32 v22, v36, v25, vcc
	v_cndmask_b32_e32 v23, v23, v24, vcc
	v_lshlrev_b32_e32 v17, 16, v17
	v_lshlrev_b32_e32 v23, 20, v23
	v_and_b32_e32 v17, 0x80000000, v17
	v_lshl_add_u32 v22, v22, 23, v47
	v_or3_b32 v25, v17, v22, v23
.LBB4_458:                              ;   in Loop: Header=BB4_264 Depth=3
	s_or_b64 exec, exec, s[48:49]
.LBB4_459:                              ;   in Loop: Header=BB4_264 Depth=3
	s_or_b64 exec, exec, s[46:47]
.LBB4_460:                              ;   in Loop: Header=BB4_264 Depth=3
	s_or_b64 exec, exec, s[18:19]
	v_add_f32_e32 v24, v42, v25
	v_and_b32_sdwa v17, v24, s61 dst_sel:DWORD dst_unused:UNUSED_PAD src0_sel:BYTE_3 src1_sel:DWORD
	v_and_b32_e32 v22, 0x7f800000, v24
	v_mov_b32_e32 v23, v43
	v_and_b32_e32 v42, 0x7fffff, v24
	v_or_b32_e32 v61, 0x7e, v17
	v_cmp_ne_u64_e32 vcc, s[36:37], v[22:23]
	s_and_saveexec_b64 s[18:19], vcc
	s_xor_b64 s[46:47], exec, s[18:19]
	s_cbranch_execz .LBB4_470
; %bb.461:                              ;   in Loop: Header=BB4_264 Depth=3
	v_and_b32_e32 v22, 0x7fffffff, v24
	v_mov_b32_e32 v23, v43
	v_cmp_gt_u64_e32 vcc, s[38:39], v[22:23]
	s_and_saveexec_b64 s[48:49], vcc
	s_cbranch_execz .LBB4_469
; %bb.462:                              ;   in Loop: Header=BB4_264 Depth=3
	v_cmp_ne_u32_e32 vcc, 0, v24
	v_mov_b32_e32 v61, 0
	s_and_saveexec_b64 s[50:51], vcc
	s_cbranch_execz .LBB4_468
; %bb.463:                              ;   in Loop: Header=BB4_264 Depth=3
	v_bfe_u32 v22, v24, 23, 8
	v_sub_u32_e32 v24, 0x79, v22
	v_cmp_gt_u32_e32 vcc, s63, v22
	v_cndmask_b32_e32 v24, 0, v24, vcc
	v_cmp_eq_u32_e32 vcc, 0, v22
	v_cndmask_b32_e32 v39, v24, v6, vcc
	v_add_u32_e32 v23, 0xffffff81, v22
	v_add_u32_e32 v22, 20, v39
	v_or_b32_e32 v25, 0x800000, v42
	v_cndmask_b32_e32 v38, v23, v30, vcc
	v_lshlrev_b64 v[22:23], v22, -1
	v_cndmask_b32_e32 v42, v25, v42, vcc
	v_not_b32_e32 v22, v22
	v_not_b32_e32 v23, v23
	v_and_b32_e32 v24, v42, v22
	v_add_u32_e32 v22, 19, v39
	v_lshrrev_b64 v[50:51], v39, v[42:43]
	v_and_b32_e32 v25, 0, v23
	v_lshlrev_b64 v[36:37], v22, 1
	v_bfe_u32 v23, v50, 20, 1
	v_add_u32_e32 v23, -1, v23
	v_cmp_eq_u64_e32 vcc, v[24:25], v[36:37]
	v_cndmask_b32_e32 v23, 0, v23, vcc
	v_add_u32_e32 v23, v23, v50
	v_lshrrev_b32_e32 v22, 23, v50
	v_and_b32_e32 v23, 0xfffff, v23
	v_add3_u32 v22, v39, v38, v22
	v_add_co_u32_e32 v24, vcc, v23, v50
	v_add_u32_e32 v44, 6, v22
	v_addc_co_u32_e32 v25, vcc, 0, v51, vcc
	v_cmp_ne_u32_e32 vcc, 0, v44
                                        ; implicit-def: $vgpr42
	s_and_saveexec_b64 s[18:19], vcc
	s_xor_b64 s[18:19], exec, s[18:19]
; %bb.464:                              ;   in Loop: Header=BB4_264 Depth=3
	v_add_u32_e32 v22, 7, v22
	v_cmp_lt_u64_e32 vcc, s[40:41], v[24:25]
	v_cndmask_b32_e32 v42, v44, v22, vcc
	v_cndmask_b32_e64 v22, 0, 1, vcc
	v_lshrrev_b64 v[24:25], v22, v[24:25]
; %bb.465:                              ;   in Loop: Header=BB4_264 Depth=3
	s_andn2_saveexec_b64 s[18:19], s[18:19]
; %bb.466:                              ;   in Loop: Header=BB4_264 Depth=3
	v_bfe_u32 v42, v24, 23, 1
; %bb.467:                              ;   in Loop: Header=BB4_264 Depth=3
	s_or_b64 exec, exec, s[18:19]
	v_lshrrev_b64 v[22:23], 20, v[24:25]
	v_cmp_gt_i32_e32 vcc, 16, v42
	v_cndmask_b32_e32 v23, 0, v23, vcc
	v_cndmask_b32_e32 v22, 7, v22, vcc
	v_cmp_eq_u64_e64 s[18:19], 0, v[22:23]
	v_min_i32_e32 v23, 15, v42
	v_cmp_eq_u32_e32 vcc, 0, v42
	v_lshlrev_b32_e32 v23, 3, v23
	v_and_or_b32 v22, v22, 7, v23
	s_and_b64 s[18:19], vcc, s[18:19]
	v_cndmask_b32_e64 v22, v22, 0, s[18:19]
	v_or_b32_e32 v61, v22, v17
.LBB4_468:                              ;   in Loop: Header=BB4_264 Depth=3
	s_or_b64 exec, exec, s[50:51]
.LBB4_469:                              ;   in Loop: Header=BB4_264 Depth=3
	s_or_b64 exec, exec, s[48:49]
                                        ; implicit-def: $vgpr24
.LBB4_470:                              ;   in Loop: Header=BB4_264 Depth=3
	s_andn2_saveexec_b64 s[18:19], s[46:47]
; %bb.471:                              ;   in Loop: Header=BB4_264 Depth=3
	v_or_b32_sdwa v17, v24, s62 dst_sel:DWORD dst_unused:UNUSED_PAD src0_sel:BYTE_3 src1_sel:DWORD
	v_cmp_eq_u64_e32 vcc, 0, v[42:43]
	v_cndmask_b32_e32 v61, v17, v61, vcc
; %bb.472:                              ;   in Loop: Header=BB4_264 Depth=3
	s_or_b64 exec, exec, s[18:19]
	v_lshrrev_b32_e32 v24, 16, v16
	v_cmp_ne_u16_sdwa vcc, v24, v43 src0_sel:BYTE_0 src1_sel:DWORD
	v_mov_b32_e32 v17, 0
	v_mov_b32_e32 v25, 0
	s_and_saveexec_b64 s[18:19], vcc
	s_cbranch_execz .LBB4_478
; %bb.473:                              ;   in Loop: Header=BB4_264 Depth=3
	v_cmp_ne_u16_sdwa vcc, v24, s61 src0_sel:BYTE_0 src1_sel:DWORD
	v_bfrev_b32_e32 v25, 1
	s_and_saveexec_b64 s[46:47], vcc
	s_cbranch_execz .LBB4_477
; %bb.474:                              ;   in Loop: Header=BB4_264 Depth=3
	v_bfe_u32 v22, v16, 16, 7
	v_cmp_ne_u32_e32 vcc, s62, v22
	v_mov_b32_e32 v25, 0x7f800001
	s_and_saveexec_b64 s[48:49], vcc
	s_cbranch_execz .LBB4_476
; %bb.475:                              ;   in Loop: Header=BB4_264 Depth=3
	v_and_b32_e32 v23, 7, v24
	v_ffbh_u32_e32 v36, v23
	v_min_u32_e32 v38, 32, v36
	v_lshrrev_b32_e32 v25, 3, v22
	v_subrev_u32_e32 v36, 28, v38
	v_lshlrev_b64 v[36:37], v36, v[24:25]
	v_sub_u32_e32 v37, 29, v38
	v_and_b32_e32 v36, 7, v36
	v_cmp_gt_u32_e32 vcc, 8, v22
	v_cndmask_b32_e32 v22, v25, v37, vcc
	v_cndmask_b32_e32 v23, v23, v36, vcc
	v_lshlrev_b32_e32 v24, 24, v24
	v_lshlrev_b32_e32 v23, 20, v23
	v_and_b32_e32 v24, 0x80000000, v24
	v_lshl_add_u32 v22, v22, 23, v47
	v_or3_b32 v25, v24, v22, v23
.LBB4_476:                              ;   in Loop: Header=BB4_264 Depth=3
	s_or_b64 exec, exec, s[48:49]
.LBB4_477:                              ;   in Loop: Header=BB4_264 Depth=3
	s_or_b64 exec, exec, s[46:47]
.LBB4_478:                              ;   in Loop: Header=BB4_264 Depth=3
	s_or_b64 exec, exec, s[18:19]
	v_cmp_ne_u16_sdwa vcc, v2, v43 src0_sel:BYTE_0 src1_sel:DWORD
	s_and_saveexec_b64 s[18:19], vcc
	s_cbranch_execz .LBB4_484
; %bb.479:                              ;   in Loop: Header=BB4_264 Depth=3
	v_cmp_ne_u16_sdwa vcc, v2, s61 src0_sel:BYTE_0 src1_sel:DWORD
	v_bfrev_b32_e32 v17, 1
	s_and_saveexec_b64 s[46:47], vcc
	s_cbranch_execz .LBB4_483
; %bb.480:                              ;   in Loop: Header=BB4_264 Depth=3
	v_and_b32_e32 v22, 0x7f, v2
	v_cmp_ne_u32_e32 vcc, s62, v22
	v_mov_b32_e32 v17, 0x7f800001
	s_and_saveexec_b64 s[48:49], vcc
	s_cbranch_execz .LBB4_482
; %bb.481:                              ;   in Loop: Header=BB4_264 Depth=3
	v_and_b32_e32 v17, 7, v2
	v_ffbh_u32_e32 v24, v17
	v_min_u32_e32 v24, 32, v24
	v_subrev_u32_e32 v36, 28, v24
	v_lshlrev_b64 v[36:37], v36, v[2:3]
	v_lshrrev_b32_e32 v23, 3, v22
	v_sub_u32_e32 v24, 29, v24
	v_and_b32_e32 v36, 7, v36
	v_cmp_gt_u32_e32 vcc, 8, v22
	v_cndmask_b32_e32 v22, v23, v24, vcc
	v_cndmask_b32_e32 v17, v17, v36, vcc
	v_lshlrev_b32_e32 v2, 24, v2
	v_lshlrev_b32_e32 v17, 20, v17
	v_and_b32_e32 v2, 0x80000000, v2
	v_lshl_add_u32 v22, v22, 23, v47
	v_or3_b32 v17, v2, v22, v17
.LBB4_482:                              ;   in Loop: Header=BB4_264 Depth=3
	s_or_b64 exec, exec, s[48:49]
.LBB4_483:                              ;   in Loop: Header=BB4_264 Depth=3
	s_or_b64 exec, exec, s[46:47]
.LBB4_484:                              ;   in Loop: Header=BB4_264 Depth=3
	s_or_b64 exec, exec, s[18:19]
	v_add_f32_e32 v17, v25, v17
	v_and_b32_sdwa v2, v17, s61 dst_sel:DWORD dst_unused:UNUSED_PAD src0_sel:BYTE_3 src1_sel:DWORD
	v_and_b32_e32 v22, 0x7f800000, v17
	v_mov_b32_e32 v23, v43
	v_and_b32_e32 v42, 0x7fffff, v17
	v_or_b32_e32 v24, 0x7e, v2
	v_cmp_ne_u64_e32 vcc, s[36:37], v[22:23]
	s_and_saveexec_b64 s[18:19], vcc
	s_xor_b64 s[46:47], exec, s[18:19]
	s_cbranch_execz .LBB4_494
; %bb.485:                              ;   in Loop: Header=BB4_264 Depth=3
	v_and_b32_e32 v22, 0x7fffffff, v17
	v_mov_b32_e32 v23, v43
	v_cmp_gt_u64_e32 vcc, s[38:39], v[22:23]
	s_and_saveexec_b64 s[48:49], vcc
	s_cbranch_execz .LBB4_493
; %bb.486:                              ;   in Loop: Header=BB4_264 Depth=3
	v_cmp_ne_u32_e32 vcc, 0, v17
	v_mov_b32_e32 v24, 0
	s_and_saveexec_b64 s[50:51], vcc
	s_cbranch_execz .LBB4_492
; %bb.487:                              ;   in Loop: Header=BB4_264 Depth=3
	v_bfe_u32 v17, v17, 23, 8
	v_sub_u32_e32 v23, 0x79, v17
	v_cmp_gt_u32_e32 vcc, s63, v17
	v_cndmask_b32_e32 v23, 0, v23, vcc
	v_cmp_eq_u32_e32 vcc, 0, v17
	v_add_u32_e32 v22, 0xffffff81, v17
	v_cndmask_b32_e32 v38, v23, v6, vcc
	v_cndmask_b32_e32 v17, v22, v30, vcc
	v_add_u32_e32 v22, 20, v38
	v_or_b32_e32 v24, 0x800000, v42
	v_lshlrev_b64 v[22:23], v22, -1
	v_cndmask_b32_e32 v42, v24, v42, vcc
	v_not_b32_e32 v22, v22
	v_and_b32_e32 v24, v42, v22
	v_add_u32_e32 v22, 19, v38
	v_lshrrev_b64 v[50:51], v38, v[42:43]
	v_not_b32_e32 v23, v23
	v_lshlrev_b64 v[36:37], v22, 1
	v_lshrrev_b32_e32 v22, 23, v50
	v_and_b32_e32 v25, 0, v23
	v_add3_u32 v22, v38, v17, v22
	v_bfe_u32 v17, v50, 20, 1
	v_add_u32_e32 v17, -1, v17
	v_cmp_eq_u64_e32 vcc, v[24:25], v[36:37]
	v_cndmask_b32_e32 v17, 0, v17, vcc
	v_add_u32_e32 v17, v17, v50
	v_and_b32_e32 v17, 0xfffff, v17
	v_add_co_u32_e32 v24, vcc, v17, v50
	v_add_u32_e32 v42, 6, v22
	v_addc_co_u32_e32 v25, vcc, 0, v51, vcc
	v_cmp_ne_u32_e32 vcc, 0, v42
                                        ; implicit-def: $vgpr17
	s_and_saveexec_b64 s[18:19], vcc
	s_xor_b64 s[18:19], exec, s[18:19]
; %bb.488:                              ;   in Loop: Header=BB4_264 Depth=3
	v_cmp_lt_u64_e32 vcc, s[40:41], v[24:25]
	v_add_u32_e32 v17, 7, v22
	v_cndmask_b32_e64 v22, 0, 1, vcc
	v_cndmask_b32_e32 v17, v42, v17, vcc
	v_lshrrev_b64 v[24:25], v22, v[24:25]
; %bb.489:                              ;   in Loop: Header=BB4_264 Depth=3
	s_andn2_saveexec_b64 s[18:19], s[18:19]
; %bb.490:                              ;   in Loop: Header=BB4_264 Depth=3
	v_bfe_u32 v17, v24, 23, 1
; %bb.491:                              ;   in Loop: Header=BB4_264 Depth=3
	s_or_b64 exec, exec, s[18:19]
	v_lshrrev_b64 v[22:23], 20, v[24:25]
	v_cmp_gt_i32_e32 vcc, 16, v17
	v_cndmask_b32_e32 v23, 0, v23, vcc
	v_cndmask_b32_e32 v22, 7, v22, vcc
	v_cmp_eq_u32_e32 vcc, 0, v17
	v_min_i32_e32 v17, 15, v17
	v_cmp_eq_u64_e64 s[18:19], 0, v[22:23]
	v_lshlrev_b32_e32 v17, 3, v17
	v_and_or_b32 v17, v22, 7, v17
	s_and_b64 s[18:19], vcc, s[18:19]
	v_cndmask_b32_e64 v17, v17, 0, s[18:19]
	v_or_b32_e32 v24, v17, v2
.LBB4_492:                              ;   in Loop: Header=BB4_264 Depth=3
	s_or_b64 exec, exec, s[50:51]
.LBB4_493:                              ;   in Loop: Header=BB4_264 Depth=3
	s_or_b64 exec, exec, s[48:49]
                                        ; implicit-def: $vgpr17
.LBB4_494:                              ;   in Loop: Header=BB4_264 Depth=3
	s_andn2_saveexec_b64 s[18:19], s[46:47]
; %bb.495:                              ;   in Loop: Header=BB4_264 Depth=3
	v_or_b32_sdwa v2, v17, s62 dst_sel:DWORD dst_unused:UNUSED_PAD src0_sel:BYTE_3 src1_sel:DWORD
	v_cmp_eq_u64_e32 vcc, 0, v[42:43]
	v_cndmask_b32_e32 v24, v2, v24, vcc
; %bb.496:                              ;   in Loop: Header=BB4_264 Depth=3
	s_or_b64 exec, exec, s[18:19]
	v_cmp_lt_u32_e32 vcc, s64, v16
	v_mov_b32_e32 v17, 0
	v_mov_b32_e32 v25, 0
	s_and_saveexec_b64 s[18:19], vcc
	s_cbranch_execz .LBB4_502
; %bb.497:                              ;   in Loop: Header=BB4_264 Depth=3
	v_lshrrev_b32_e32 v2, 24, v16
	v_cmp_ne_u32_e32 vcc, s61, v2
	v_bfrev_b32_e32 v25, 1
	s_and_saveexec_b64 s[46:47], vcc
	s_cbranch_execz .LBB4_501
; %bb.498:                              ;   in Loop: Header=BB4_264 Depth=3
	v_bfe_u32 v16, v16, 24, 7
	v_cmp_ne_u32_e32 vcc, s62, v16
	v_mov_b32_e32 v25, 0x7f800001
	s_and_saveexec_b64 s[48:49], vcc
	s_cbranch_execz .LBB4_500
; %bb.499:                              ;   in Loop: Header=BB4_264 Depth=3
	v_and_b32_e32 v25, 7, v2
	v_ffbh_u32_e32 v22, v25
	v_min_u32_e32 v37, 32, v22
	v_subrev_u32_e32 v22, 28, v37
	v_lshlrev_b64 v[22:23], v22, v[2:3]
	v_lshrrev_b32_e32 v36, 3, v16
	v_sub_u32_e32 v23, 29, v37
	v_and_b32_e32 v22, 7, v22
	v_cmp_gt_u32_e32 vcc, 8, v16
	v_cndmask_b32_e32 v16, v36, v23, vcc
	v_cndmask_b32_e32 v22, v25, v22, vcc
	v_lshlrev_b32_e32 v2, 24, v2
	v_lshlrev_b32_e32 v22, 20, v22
	v_and_b32_e32 v2, 0x80000000, v2
	v_lshl_add_u32 v16, v16, 23, v47
	v_or3_b32 v25, v2, v16, v22
.LBB4_500:                              ;   in Loop: Header=BB4_264 Depth=3
	s_or_b64 exec, exec, s[48:49]
.LBB4_501:                              ;   in Loop: Header=BB4_264 Depth=3
	s_or_b64 exec, exec, s[46:47]
.LBB4_502:                              ;   in Loop: Header=BB4_264 Depth=3
	s_or_b64 exec, exec, s[18:19]
	v_lshlrev_b32_e32 v2, 8, v60
	v_and_b32_e32 v2, 0xff00, v2
	v_cmp_ne_u32_e32 vcc, 0, v2
	s_and_saveexec_b64 s[18:19], vcc
	s_cbranch_execz .LBB4_508
; %bb.503:                              ;   in Loop: Header=BB4_264 Depth=3
	v_cmp_ne_u32_e32 vcc, s68, v2
	v_bfrev_b32_e32 v17, 1
	s_and_saveexec_b64 s[46:47], vcc
	s_cbranch_execz .LBB4_507
; %bb.504:                              ;   in Loop: Header=BB4_264 Depth=3
	v_bfe_u32 v16, v2, 8, 7
	v_cmp_ne_u32_e32 vcc, s62, v16
	v_mov_b32_e32 v17, 0x7f800001
	s_and_saveexec_b64 s[48:49], vcc
	s_cbranch_execz .LBB4_506
; %bb.505:                              ;   in Loop: Header=BB4_264 Depth=3
	v_lshrrev_b32_e32 v22, 8, v2
	v_and_b32_e32 v17, 7, v22
	v_ffbh_u32_e32 v23, v17
	v_min_u32_e32 v37, 32, v23
	v_subrev_u32_e32 v23, 28, v37
	v_lshlrev_b64 v[22:23], v23, v[22:23]
	v_lshrrev_b32_e32 v36, 3, v16
	v_sub_u32_e32 v23, 29, v37
	v_and_b32_e32 v22, 7, v22
	v_cmp_gt_u32_e32 vcc, 8, v16
	v_cndmask_b32_e32 v16, v36, v23, vcc
	v_cndmask_b32_e32 v17, v17, v22, vcc
	v_lshlrev_b32_e32 v2, 16, v2
	v_lshlrev_b32_e32 v17, 20, v17
	v_and_b32_e32 v2, 0x80000000, v2
	v_lshl_add_u32 v16, v16, 23, v47
	v_or3_b32 v17, v2, v16, v17
.LBB4_506:                              ;   in Loop: Header=BB4_264 Depth=3
	s_or_b64 exec, exec, s[48:49]
.LBB4_507:                              ;   in Loop: Header=BB4_264 Depth=3
	s_or_b64 exec, exec, s[46:47]
.LBB4_508:                              ;   in Loop: Header=BB4_264 Depth=3
	s_or_b64 exec, exec, s[18:19]
	v_add_f32_e32 v16, v25, v17
	v_and_b32_sdwa v2, v16, s61 dst_sel:DWORD dst_unused:UNUSED_PAD src0_sel:BYTE_3 src1_sel:DWORD
	v_and_b32_e32 v22, 0x7f800000, v16
	v_mov_b32_e32 v23, v43
	v_and_b32_e32 v42, 0x7fffff, v16
	v_or_b32_e32 v25, 0x7e, v2
	v_cmp_ne_u64_e32 vcc, s[36:37], v[22:23]
	s_and_saveexec_b64 s[18:19], vcc
	s_xor_b64 s[46:47], exec, s[18:19]
	s_cbranch_execz .LBB4_518
; %bb.509:                              ;   in Loop: Header=BB4_264 Depth=3
	v_and_b32_e32 v22, 0x7fffffff, v16
	v_mov_b32_e32 v23, v43
	v_cmp_gt_u64_e32 vcc, s[38:39], v[22:23]
	s_and_saveexec_b64 s[48:49], vcc
	s_cbranch_execz .LBB4_517
; %bb.510:                              ;   in Loop: Header=BB4_264 Depth=3
	v_cmp_ne_u32_e32 vcc, 0, v16
	v_mov_b32_e32 v25, 0
	s_and_saveexec_b64 s[50:51], vcc
	s_cbranch_execz .LBB4_516
; %bb.511:                              ;   in Loop: Header=BB4_264 Depth=3
	v_bfe_u32 v16, v16, 23, 8
	v_sub_u32_e32 v22, 0x79, v16
	v_cmp_gt_u32_e32 vcc, s63, v16
	v_cndmask_b32_e32 v22, 0, v22, vcc
	v_cmp_eq_u32_e32 vcc, 0, v16
	v_or_b32_e32 v23, 0x800000, v42
	v_cndmask_b32_e32 v22, v22, v6, vcc
	v_add_u32_e32 v17, 0xffffff81, v16
	v_cndmask_b32_e32 v42, v23, v42, vcc
	v_add_u32_e32 v16, 20, v22
	v_cndmask_b32_e32 v25, v17, v30, vcc
	v_lshlrev_b64 v[16:17], v16, -1
	v_add_u32_e32 v23, 19, v22
	v_lshrrev_b64 v[50:51], v22, v[42:43]
	v_not_b32_e32 v17, v17
	v_not_b32_e32 v16, v16
	v_lshlrev_b64 v[36:37], v23, 1
	v_lshrrev_b32_e32 v23, 23, v50
	v_and_b32_e32 v17, 0, v17
	v_and_b32_e32 v16, v42, v16
	v_add3_u32 v22, v22, v25, v23
	v_bfe_u32 v23, v50, 20, 1
	v_add_u32_e32 v23, -1, v23
	v_cmp_eq_u64_e32 vcc, v[16:17], v[36:37]
	v_cndmask_b32_e32 v16, 0, v23, vcc
	v_add_u32_e32 v16, v16, v50
	v_and_b32_e32 v16, 0xfffff, v16
	v_add_co_u32_e32 v16, vcc, v16, v50
	v_add_u32_e32 v42, 6, v22
	v_addc_co_u32_e32 v17, vcc, 0, v51, vcc
	v_cmp_ne_u32_e32 vcc, 0, v42
                                        ; implicit-def: $vgpr25
	s_and_saveexec_b64 s[18:19], vcc
	s_xor_b64 s[18:19], exec, s[18:19]
; %bb.512:                              ;   in Loop: Header=BB4_264 Depth=3
	v_add_u32_e32 v22, 7, v22
	v_cmp_lt_u64_e32 vcc, s[40:41], v[16:17]
	v_cndmask_b32_e32 v25, v42, v22, vcc
	v_cndmask_b32_e64 v22, 0, 1, vcc
	v_lshrrev_b64 v[16:17], v22, v[16:17]
; %bb.513:                              ;   in Loop: Header=BB4_264 Depth=3
	s_andn2_saveexec_b64 s[18:19], s[18:19]
; %bb.514:                              ;   in Loop: Header=BB4_264 Depth=3
	v_bfe_u32 v25, v16, 23, 1
; %bb.515:                              ;   in Loop: Header=BB4_264 Depth=3
	s_or_b64 exec, exec, s[18:19]
	v_lshrrev_b64 v[16:17], 20, v[16:17]
	v_cmp_gt_i32_e32 vcc, 16, v25
	v_cndmask_b32_e32 v17, 0, v17, vcc
	v_cndmask_b32_e32 v16, 7, v16, vcc
	v_cmp_eq_u64_e64 s[18:19], 0, v[16:17]
	v_min_i32_e32 v17, 15, v25
	v_cmp_eq_u32_e32 vcc, 0, v25
	v_lshlrev_b32_e32 v17, 3, v17
	v_and_or_b32 v16, v16, 7, v17
	s_and_b64 s[18:19], vcc, s[18:19]
	v_cndmask_b32_e64 v16, v16, 0, s[18:19]
	v_or_b32_e32 v25, v16, v2
.LBB4_516:                              ;   in Loop: Header=BB4_264 Depth=3
	s_or_b64 exec, exec, s[50:51]
.LBB4_517:                              ;   in Loop: Header=BB4_264 Depth=3
	s_or_b64 exec, exec, s[48:49]
                                        ; implicit-def: $vgpr16
.LBB4_518:                              ;   in Loop: Header=BB4_264 Depth=3
	s_andn2_saveexec_b64 s[18:19], s[46:47]
; %bb.519:                              ;   in Loop: Header=BB4_264 Depth=3
	v_or_b32_sdwa v2, v16, s62 dst_sel:DWORD dst_unused:UNUSED_PAD src0_sel:BYTE_3 src1_sel:DWORD
	v_cmp_eq_u64_e32 vcc, 0, v[42:43]
	v_cndmask_b32_e32 v25, v2, v25, vcc
; %bb.520:                              ;   in Loop: Header=BB4_264 Depth=3
	s_or_b64 exec, exec, s[18:19]
	v_cmp_ne_u16_sdwa vcc, v18, v43 src0_sel:BYTE_0 src1_sel:DWORD
	v_mov_b32_e32 v2, 0
	v_mov_b32_e32 v16, 0
	s_and_saveexec_b64 s[18:19], vcc
	s_cbranch_execz .LBB4_526
; %bb.521:                              ;   in Loop: Header=BB4_264 Depth=3
	v_cmp_ne_u16_sdwa vcc, v18, s61 src0_sel:BYTE_0 src1_sel:DWORD
	v_bfrev_b32_e32 v16, 1
	s_and_saveexec_b64 s[46:47], vcc
	s_cbranch_execz .LBB4_525
; %bb.522:                              ;   in Loop: Header=BB4_264 Depth=3
	v_and_b32_e32 v17, 0x7f, v18
	v_cmp_ne_u32_e32 vcc, s62, v17
	v_mov_b32_e32 v16, 0x7f800001
	s_and_saveexec_b64 s[48:49], vcc
	s_cbranch_execz .LBB4_524
; %bb.523:                              ;   in Loop: Header=BB4_264 Depth=3
	v_and_b32_e32 v16, 7, v18
	v_ffbh_u32_e32 v16, v16
	v_min_u32_e32 v16, 32, v16
	v_lshrrev_b32_e32 v22, 3, v17
	v_subrev_u32_e32 v23, 28, v16
	v_sub_u32_e32 v16, 29, v16
	v_cmp_gt_u32_e32 vcc, 8, v17
	v_cndmask_b32_e32 v22, v22, v16, vcc
	v_cndmask_b32_e32 v16, 0, v23, vcc
	v_lshlrev_b64 v[16:17], v16, v[18:19]
	v_lshlrev_b32_e32 v16, 20, v16
	v_lshlrev_b32_e32 v17, 24, v18
	v_and_b32_e32 v16, 0x700000, v16
	v_and_b32_e32 v17, 0x80000000, v17
	v_lshl_add_u32 v19, v22, 23, v47
	v_or3_b32 v16, v17, v19, v16
.LBB4_524:                              ;   in Loop: Header=BB4_264 Depth=3
	s_or_b64 exec, exec, s[48:49]
.LBB4_525:                              ;   in Loop: Header=BB4_264 Depth=3
	s_or_b64 exec, exec, s[46:47]
.LBB4_526:                              ;   in Loop: Header=BB4_264 Depth=3
	s_or_b64 exec, exec, s[18:19]
	v_lshlrev_b32_e32 v31, 8, v31
	v_lshlrev_b32_e32 v17, 24, v27
	v_perm_b32 v19, v26, v33, s69
	v_or3_b32 v42, v19, v17, v31
	v_cmp_ne_u16_sdwa vcc, v33, v43 src0_sel:BYTE_0 src1_sel:DWORD
	s_and_saveexec_b64 s[18:19], vcc
	s_cbranch_execz .LBB4_532
; %bb.527:                              ;   in Loop: Header=BB4_264 Depth=3
	v_cmp_ne_u16_sdwa vcc, v33, s61 src0_sel:BYTE_0 src1_sel:DWORD
	v_bfrev_b32_e32 v2, 1
	s_and_saveexec_b64 s[46:47], vcc
	s_cbranch_execz .LBB4_531
; %bb.528:                              ;   in Loop: Header=BB4_264 Depth=3
	v_and_b32_e32 v17, 0x7f, v33
	v_cmp_ne_u32_e32 vcc, s62, v17
	v_mov_b32_e32 v2, 0x7f800001
	s_and_saveexec_b64 s[48:49], vcc
	s_cbranch_execz .LBB4_530
; %bb.529:                              ;   in Loop: Header=BB4_264 Depth=3
	v_and_b32_e32 v2, 7, v33
	v_ffbh_u32_e32 v2, v2
	v_min_u32_e32 v2, 32, v2
	v_subrev_u32_e32 v22, 28, v2
	v_cmp_gt_u32_e32 vcc, 8, v17
	v_lshrrev_b32_e32 v19, 3, v17
	v_cndmask_b32_e32 v17, 0, v22, vcc
	v_sub_u32_e32 v2, 29, v2
	v_lshlrev_b64 v[22:23], v17, v[42:43]
	v_cndmask_b32_e32 v2, v19, v2, vcc
	v_lshlrev_b32_e32 v17, 20, v22
	v_lshlrev_b32_e32 v19, 24, v42
	v_and_b32_e32 v17, 0x700000, v17
	v_and_b32_e32 v19, 0x80000000, v19
	v_lshl_add_u32 v2, v2, 23, v47
	v_or3_b32 v2, v19, v2, v17
.LBB4_530:                              ;   in Loop: Header=BB4_264 Depth=3
	s_or_b64 exec, exec, s[48:49]
.LBB4_531:                              ;   in Loop: Header=BB4_264 Depth=3
	s_or_b64 exec, exec, s[46:47]
.LBB4_532:                              ;   in Loop: Header=BB4_264 Depth=3
	s_or_b64 exec, exec, s[18:19]
	v_add_f32_e32 v26, v16, v2
	v_and_b32_sdwa v2, v26, s61 dst_sel:DWORD dst_unused:UNUSED_PAD src0_sel:BYTE_3 src1_sel:DWORD
	v_and_b32_e32 v22, 0x7f800000, v26
	v_mov_b32_e32 v23, v43
	v_and_b32_e32 v16, 0x7fffff, v26
	v_mov_b32_e32 v17, v43
	v_or_b32_e32 v19, 0x7e, v2
	v_cmp_ne_u64_e32 vcc, s[36:37], v[22:23]
	s_and_saveexec_b64 s[18:19], vcc
	s_xor_b64 s[46:47], exec, s[18:19]
	s_cbranch_execz .LBB4_542
; %bb.533:                              ;   in Loop: Header=BB4_264 Depth=3
	v_and_b32_e32 v22, 0x7fffffff, v26
	v_mov_b32_e32 v23, v43
	v_cmp_gt_u64_e32 vcc, s[38:39], v[22:23]
	s_and_saveexec_b64 s[48:49], vcc
	s_cbranch_execz .LBB4_541
; %bb.534:                              ;   in Loop: Header=BB4_264 Depth=3
	v_cmp_ne_u32_e32 vcc, 0, v26
	v_mov_b32_e32 v19, 0
	s_and_saveexec_b64 s[50:51], vcc
	s_cbranch_execz .LBB4_540
; %bb.535:                              ;   in Loop: Header=BB4_264 Depth=3
	v_bfe_u32 v19, v26, 23, 8
	v_sub_u32_e32 v23, 0x79, v19
	v_cmp_gt_u32_e32 vcc, s63, v19
	v_cndmask_b32_e32 v23, 0, v23, vcc
	v_cmp_eq_u32_e32 vcc, 0, v19
	v_add_u32_e32 v22, 0xffffff81, v19
	v_cndmask_b32_e32 v27, v23, v6, vcc
	v_cndmask_b32_e32 v19, v22, v30, vcc
	v_add_u32_e32 v22, 20, v27
	v_or_b32_e32 v26, 0x800000, v16
	v_lshlrev_b64 v[22:23], v22, -1
	v_cndmask_b32_e32 v16, v26, v16, vcc
	v_not_b32_e32 v22, v22
	v_and_b32_e32 v36, v16, v22
	v_add_u32_e32 v22, 19, v27
	v_lshrrev_b64 v[16:17], v27, v[16:17]
	v_not_b32_e32 v23, v23
	v_lshlrev_b64 v[50:51], v22, 1
	v_lshrrev_b32_e32 v22, 23, v16
	v_and_b32_e32 v37, 0, v23
	v_add3_u32 v22, v27, v19, v22
	v_bfe_u32 v19, v16, 20, 1
	v_add_u32_e32 v19, -1, v19
	v_cmp_eq_u64_e32 vcc, v[36:37], v[50:51]
	v_cndmask_b32_e32 v19, 0, v19, vcc
	v_add_u32_e32 v19, v19, v16
	v_and_b32_e32 v19, 0xfffff, v19
	v_add_co_u32_e32 v16, vcc, v19, v16
	v_add_u32_e32 v26, 6, v22
	v_addc_co_u32_e32 v17, vcc, 0, v17, vcc
	v_cmp_ne_u32_e32 vcc, 0, v26
                                        ; implicit-def: $vgpr19
	s_and_saveexec_b64 s[18:19], vcc
	s_xor_b64 s[18:19], exec, s[18:19]
; %bb.536:                              ;   in Loop: Header=BB4_264 Depth=3
	v_cmp_lt_u64_e32 vcc, s[40:41], v[16:17]
	v_add_u32_e32 v19, 7, v22
	v_cndmask_b32_e64 v22, 0, 1, vcc
	v_cndmask_b32_e32 v19, v26, v19, vcc
	v_lshrrev_b64 v[16:17], v22, v[16:17]
; %bb.537:                              ;   in Loop: Header=BB4_264 Depth=3
	s_andn2_saveexec_b64 s[18:19], s[18:19]
; %bb.538:                              ;   in Loop: Header=BB4_264 Depth=3
	v_bfe_u32 v19, v16, 23, 1
; %bb.539:                              ;   in Loop: Header=BB4_264 Depth=3
	s_or_b64 exec, exec, s[18:19]
	v_lshrrev_b64 v[16:17], 20, v[16:17]
	v_cmp_gt_i32_e32 vcc, 16, v19
	v_cndmask_b32_e32 v17, 0, v17, vcc
	v_cndmask_b32_e32 v16, 7, v16, vcc
	v_cmp_eq_u64_e64 s[18:19], 0, v[16:17]
	v_min_i32_e32 v17, 15, v19
	v_cmp_eq_u32_e32 vcc, 0, v19
	v_lshlrev_b32_e32 v17, 3, v17
	v_and_or_b32 v16, v16, 7, v17
	s_and_b64 s[18:19], vcc, s[18:19]
	v_cndmask_b32_e64 v16, v16, 0, s[18:19]
	v_or_b32_e32 v19, v16, v2
.LBB4_540:                              ;   in Loop: Header=BB4_264 Depth=3
	s_or_b64 exec, exec, s[50:51]
.LBB4_541:                              ;   in Loop: Header=BB4_264 Depth=3
	s_or_b64 exec, exec, s[48:49]
                                        ; implicit-def: $vgpr26
                                        ; implicit-def: $vgpr16_vgpr17
.LBB4_542:                              ;   in Loop: Header=BB4_264 Depth=3
	s_andn2_saveexec_b64 s[18:19], s[46:47]
; %bb.543:                              ;   in Loop: Header=BB4_264 Depth=3
	v_or_b32_sdwa v2, v26, s62 dst_sel:DWORD dst_unused:UNUSED_PAD src0_sel:BYTE_3 src1_sel:DWORD
	v_cmp_eq_u64_e32 vcc, 0, v[16:17]
	v_cndmask_b32_e32 v19, v2, v19, vcc
; %bb.544:                              ;   in Loop: Header=BB4_264 Depth=3
	s_or_b64 exec, exec, s[18:19]
	v_lshrrev_b16_e32 v2, 8, v18
	v_cmp_ne_u16_e32 vcc, 0, v2
	v_mov_b32_e32 v16, 0
	v_mov_b32_e32 v17, 0
	s_and_saveexec_b64 s[18:19], vcc
	s_cbranch_execz .LBB4_550
; %bb.545:                              ;   in Loop: Header=BB4_264 Depth=3
	v_cmp_ne_u16_e32 vcc, s61, v2
	v_bfrev_b32_e32 v17, 1
	s_and_saveexec_b64 s[46:47], vcc
	s_cbranch_execz .LBB4_549
; %bb.546:                              ;   in Loop: Header=BB4_264 Depth=3
	v_and_b32_e32 v22, 0x7f, v2
	v_cmp_ne_u32_e32 vcc, s62, v22
	v_mov_b32_e32 v17, 0x7f800001
	s_and_saveexec_b64 s[48:49], vcc
	s_cbranch_execz .LBB4_548
; %bb.547:                              ;   in Loop: Header=BB4_264 Depth=3
	v_and_b32_e32 v17, 7, v2
	v_ffbh_u32_e32 v26, v17
	v_min_u32_e32 v33, 32, v26
	v_subrev_u32_e32 v26, 28, v33
	v_lshlrev_b64 v[26:27], v26, v[2:3]
	v_lshrrev_b32_e32 v23, 3, v22
	v_sub_u32_e32 v2, 29, v33
	v_and_b32_e32 v26, 7, v26
	v_cmp_gt_u32_e32 vcc, 8, v22
	v_cndmask_b32_e32 v2, v23, v2, vcc
	v_cndmask_b32_e32 v17, v17, v26, vcc
	v_lshlrev_b32_e32 v22, 16, v18
	v_lshlrev_b32_e32 v17, 20, v17
	v_and_b32_e32 v22, 0x80000000, v22
	v_lshl_add_u32 v2, v2, 23, v47
	v_or3_b32 v17, v22, v2, v17
.LBB4_548:                              ;   in Loop: Header=BB4_264 Depth=3
	s_or_b64 exec, exec, s[48:49]
.LBB4_549:                              ;   in Loop: Header=BB4_264 Depth=3
	s_or_b64 exec, exec, s[46:47]
.LBB4_550:                              ;   in Loop: Header=BB4_264 Depth=3
	s_or_b64 exec, exec, s[18:19]
	v_lshrrev_b16_e32 v2, 8, v31
	v_cmp_ne_u16_e32 vcc, 0, v2
	s_and_saveexec_b64 s[18:19], vcc
	s_cbranch_execz .LBB4_556
; %bb.551:                              ;   in Loop: Header=BB4_264 Depth=3
	v_cmp_ne_u16_e32 vcc, s61, v2
	v_bfrev_b32_e32 v16, 1
	s_and_saveexec_b64 s[46:47], vcc
	s_cbranch_execz .LBB4_555
; %bb.552:                              ;   in Loop: Header=BB4_264 Depth=3
	v_and_b32_e32 v22, 0x7f, v2
	v_cmp_ne_u32_e32 vcc, s62, v22
	v_mov_b32_e32 v16, 0x7f800001
	s_and_saveexec_b64 s[48:49], vcc
	s_cbranch_execz .LBB4_554
; %bb.553:                              ;   in Loop: Header=BB4_264 Depth=3
	v_and_b32_e32 v16, 7, v2
	v_ffbh_u32_e32 v26, v16
	v_min_u32_e32 v33, 32, v26
	v_subrev_u32_e32 v26, 28, v33
	v_lshlrev_b64 v[26:27], v26, v[2:3]
	v_lshrrev_b32_e32 v23, 3, v22
	v_sub_u32_e32 v2, 29, v33
	v_and_b32_e32 v26, 7, v26
	v_cmp_gt_u32_e32 vcc, 8, v22
	v_cndmask_b32_e32 v2, v23, v2, vcc
	v_cndmask_b32_e32 v16, v16, v26, vcc
	v_lshlrev_b32_e32 v22, 16, v31
	v_lshlrev_b32_e32 v16, 20, v16
	v_and_b32_e32 v22, 0x80000000, v22
	v_lshl_add_u32 v2, v2, 23, v47
	v_or3_b32 v16, v22, v2, v16
.LBB4_554:                              ;   in Loop: Header=BB4_264 Depth=3
	s_or_b64 exec, exec, s[48:49]
.LBB4_555:                              ;   in Loop: Header=BB4_264 Depth=3
	s_or_b64 exec, exec, s[46:47]
.LBB4_556:                              ;   in Loop: Header=BB4_264 Depth=3
	s_or_b64 exec, exec, s[18:19]
	v_add_f32_e32 v27, v17, v16
	v_and_b32_sdwa v2, v27, s61 dst_sel:DWORD dst_unused:UNUSED_PAD src0_sel:BYTE_3 src1_sel:DWORD
	v_and_b32_e32 v22, 0x7f800000, v27
	v_mov_b32_e32 v23, v43
	v_and_b32_e32 v16, 0x7fffff, v27
	v_mov_b32_e32 v17, v43
	v_or_b32_e32 v26, 0x7e, v2
	v_cmp_ne_u64_e32 vcc, s[36:37], v[22:23]
	s_and_saveexec_b64 s[18:19], vcc
	s_xor_b64 s[46:47], exec, s[18:19]
	s_cbranch_execz .LBB4_566
; %bb.557:                              ;   in Loop: Header=BB4_264 Depth=3
	v_and_b32_e32 v22, 0x7fffffff, v27
	v_mov_b32_e32 v23, v43
	v_cmp_gt_u64_e32 vcc, s[38:39], v[22:23]
	s_and_saveexec_b64 s[48:49], vcc
	s_cbranch_execz .LBB4_565
; %bb.558:                              ;   in Loop: Header=BB4_264 Depth=3
	v_cmp_ne_u32_e32 vcc, 0, v27
	v_mov_b32_e32 v26, 0
	s_and_saveexec_b64 s[50:51], vcc
	s_cbranch_execz .LBB4_564
; %bb.559:                              ;   in Loop: Header=BB4_264 Depth=3
	v_bfe_u32 v22, v27, 23, 8
	v_sub_u32_e32 v26, 0x79, v22
	v_cmp_gt_u32_e32 vcc, s63, v22
	v_cndmask_b32_e32 v26, 0, v26, vcc
	v_cmp_eq_u32_e32 vcc, 0, v22
	v_cndmask_b32_e32 v26, v26, v6, vcc
	v_add_u32_e32 v23, 0xffffff81, v22
	v_add_u32_e32 v22, 20, v26
	v_or_b32_e32 v27, 0x800000, v16
	v_cndmask_b32_e32 v31, v23, v30, vcc
	v_lshlrev_b64 v[22:23], v22, -1
	v_cndmask_b32_e32 v16, v27, v16, vcc
	v_not_b32_e32 v22, v22
	v_not_b32_e32 v23, v23
	v_and_b32_e32 v36, v16, v22
	v_add_u32_e32 v22, 19, v26
	v_lshrrev_b64 v[16:17], v26, v[16:17]
	v_and_b32_e32 v37, 0, v23
	v_lshlrev_b64 v[50:51], v22, 1
	v_bfe_u32 v23, v16, 20, 1
	v_add_u32_e32 v23, -1, v23
	v_cmp_eq_u64_e32 vcc, v[36:37], v[50:51]
	v_cndmask_b32_e32 v23, 0, v23, vcc
	v_add_u32_e32 v23, v23, v16
	v_lshrrev_b32_e32 v22, 23, v16
	v_and_b32_e32 v23, 0xfffff, v23
	v_add3_u32 v22, v26, v31, v22
	v_add_co_u32_e32 v16, vcc, v23, v16
	v_add_u32_e32 v27, 6, v22
	v_addc_co_u32_e32 v17, vcc, 0, v17, vcc
	v_cmp_ne_u32_e32 vcc, 0, v27
                                        ; implicit-def: $vgpr26
	s_and_saveexec_b64 s[18:19], vcc
	s_xor_b64 s[18:19], exec, s[18:19]
; %bb.560:                              ;   in Loop: Header=BB4_264 Depth=3
	v_add_u32_e32 v22, 7, v22
	v_cmp_lt_u64_e32 vcc, s[40:41], v[16:17]
	v_cndmask_b32_e32 v26, v27, v22, vcc
	v_cndmask_b32_e64 v22, 0, 1, vcc
	v_lshrrev_b64 v[16:17], v22, v[16:17]
; %bb.561:                              ;   in Loop: Header=BB4_264 Depth=3
	s_andn2_saveexec_b64 s[18:19], s[18:19]
; %bb.562:                              ;   in Loop: Header=BB4_264 Depth=3
	v_bfe_u32 v26, v16, 23, 1
; %bb.563:                              ;   in Loop: Header=BB4_264 Depth=3
	s_or_b64 exec, exec, s[18:19]
	v_lshrrev_b64 v[16:17], 20, v[16:17]
	v_cmp_gt_i32_e32 vcc, 16, v26
	v_cndmask_b32_e32 v17, 0, v17, vcc
	v_cndmask_b32_e32 v16, 7, v16, vcc
	v_cmp_eq_u64_e64 s[18:19], 0, v[16:17]
	v_min_i32_e32 v17, 15, v26
	v_cmp_eq_u32_e32 vcc, 0, v26
	v_lshlrev_b32_e32 v17, 3, v17
	v_and_or_b32 v16, v16, 7, v17
	s_and_b64 s[18:19], vcc, s[18:19]
	v_cndmask_b32_e64 v16, v16, 0, s[18:19]
	v_or_b32_e32 v26, v16, v2
.LBB4_564:                              ;   in Loop: Header=BB4_264 Depth=3
	s_or_b64 exec, exec, s[50:51]
.LBB4_565:                              ;   in Loop: Header=BB4_264 Depth=3
	s_or_b64 exec, exec, s[48:49]
                                        ; implicit-def: $vgpr27
                                        ; implicit-def: $vgpr16_vgpr17
.LBB4_566:                              ;   in Loop: Header=BB4_264 Depth=3
	s_andn2_saveexec_b64 s[18:19], s[46:47]
; %bb.567:                              ;   in Loop: Header=BB4_264 Depth=3
	v_or_b32_sdwa v2, v27, s62 dst_sel:DWORD dst_unused:UNUSED_PAD src0_sel:BYTE_3 src1_sel:DWORD
	v_cmp_eq_u64_e32 vcc, 0, v[16:17]
	v_cndmask_b32_e32 v26, v2, v26, vcc
; %bb.568:                              ;   in Loop: Header=BB4_264 Depth=3
	s_or_b64 exec, exec, s[18:19]
	v_lshrrev_b32_e32 v2, 16, v18
	v_cmp_ne_u16_sdwa vcc, v2, v43 src0_sel:BYTE_0 src1_sel:DWORD
	v_mov_b32_e32 v16, 0
	v_mov_b32_e32 v17, 0
	s_and_saveexec_b64 s[18:19], vcc
	s_cbranch_execz .LBB4_574
; %bb.569:                              ;   in Loop: Header=BB4_264 Depth=3
	v_cmp_ne_u16_sdwa vcc, v2, s61 src0_sel:BYTE_0 src1_sel:DWORD
	v_bfrev_b32_e32 v17, 1
	s_and_saveexec_b64 s[46:47], vcc
	s_cbranch_execz .LBB4_573
; %bb.570:                              ;   in Loop: Header=BB4_264 Depth=3
	v_bfe_u32 v22, v18, 16, 7
	v_cmp_ne_u32_e32 vcc, s62, v22
	v_mov_b32_e32 v17, 0x7f800001
	s_and_saveexec_b64 s[48:49], vcc
	s_cbranch_execz .LBB4_572
; %bb.571:                              ;   in Loop: Header=BB4_264 Depth=3
	v_and_b32_e32 v17, 7, v2
	v_ffbh_u32_e32 v27, v17
	v_min_u32_e32 v27, 32, v27
	v_subrev_u32_e32 v31, 28, v27
	v_lshlrev_b64 v[36:37], v31, v[2:3]
	v_lshrrev_b32_e32 v23, 3, v22
	v_sub_u32_e32 v27, 29, v27
	v_and_b32_e32 v31, 7, v36
	v_cmp_gt_u32_e32 vcc, 8, v22
	v_cndmask_b32_e32 v22, v23, v27, vcc
	v_cndmask_b32_e32 v17, v17, v31, vcc
	v_lshlrev_b32_e32 v2, 24, v2
	v_lshlrev_b32_e32 v17, 20, v17
	v_and_b32_e32 v2, 0x80000000, v2
	v_lshl_add_u32 v22, v22, 23, v47
	v_or3_b32 v17, v2, v22, v17
.LBB4_572:                              ;   in Loop: Header=BB4_264 Depth=3
	s_or_b64 exec, exec, s[48:49]
.LBB4_573:                              ;   in Loop: Header=BB4_264 Depth=3
	s_or_b64 exec, exec, s[46:47]
.LBB4_574:                              ;   in Loop: Header=BB4_264 Depth=3
	s_or_b64 exec, exec, s[18:19]
	v_lshrrev_b32_e32 v2, 16, v42
	v_cmp_ne_u16_sdwa vcc, v2, v43 src0_sel:BYTE_0 src1_sel:DWORD
	s_and_saveexec_b64 s[18:19], vcc
	s_cbranch_execz .LBB4_580
; %bb.575:                              ;   in Loop: Header=BB4_264 Depth=3
	v_cmp_ne_u16_sdwa vcc, v2, s61 src0_sel:BYTE_0 src1_sel:DWORD
	v_bfrev_b32_e32 v16, 1
	s_and_saveexec_b64 s[46:47], vcc
	s_cbranch_execz .LBB4_579
; %bb.576:                              ;   in Loop: Header=BB4_264 Depth=3
	v_bfe_u32 v22, v42, 16, 7
	v_cmp_ne_u32_e32 vcc, s62, v22
	v_mov_b32_e32 v16, 0x7f800001
	s_and_saveexec_b64 s[48:49], vcc
	s_cbranch_execz .LBB4_578
; %bb.577:                              ;   in Loop: Header=BB4_264 Depth=3
	v_and_b32_e32 v16, 7, v2
	v_ffbh_u32_e32 v27, v16
	v_min_u32_e32 v27, 32, v27
	v_subrev_u32_e32 v31, 28, v27
	v_lshlrev_b64 v[36:37], v31, v[2:3]
	v_lshrrev_b32_e32 v23, 3, v22
	v_sub_u32_e32 v2, 29, v27
	v_and_b32_e32 v27, 7, v36
	v_cmp_gt_u32_e32 vcc, 8, v22
	v_cndmask_b32_e32 v2, v23, v2, vcc
	v_cndmask_b32_e32 v16, v16, v27, vcc
	v_lshlrev_b32_e32 v22, 8, v42
	v_lshlrev_b32_e32 v16, 20, v16
	v_and_b32_e32 v22, 0x80000000, v22
	v_lshl_add_u32 v2, v2, 23, v47
	v_or3_b32 v16, v22, v2, v16
.LBB4_578:                              ;   in Loop: Header=BB4_264 Depth=3
	s_or_b64 exec, exec, s[48:49]
.LBB4_579:                              ;   in Loop: Header=BB4_264 Depth=3
	s_or_b64 exec, exec, s[46:47]
.LBB4_580:                              ;   in Loop: Header=BB4_264 Depth=3
	s_or_b64 exec, exec, s[18:19]
	v_add_f32_e32 v31, v17, v16
	v_and_b32_sdwa v2, v31, s61 dst_sel:DWORD dst_unused:UNUSED_PAD src0_sel:BYTE_3 src1_sel:DWORD
	v_and_b32_e32 v22, 0x7f800000, v31
	v_mov_b32_e32 v23, v43
	v_and_b32_e32 v16, 0x7fffff, v31
	v_mov_b32_e32 v17, v43
	v_or_b32_e32 v27, 0x7e, v2
	v_cmp_ne_u64_e32 vcc, s[36:37], v[22:23]
	s_and_saveexec_b64 s[18:19], vcc
	s_xor_b64 s[46:47], exec, s[18:19]
	s_cbranch_execz .LBB4_590
; %bb.581:                              ;   in Loop: Header=BB4_264 Depth=3
	v_and_b32_e32 v22, 0x7fffffff, v31
	v_mov_b32_e32 v23, v43
	v_cmp_gt_u64_e32 vcc, s[38:39], v[22:23]
	s_and_saveexec_b64 s[48:49], vcc
	s_cbranch_execz .LBB4_589
; %bb.582:                              ;   in Loop: Header=BB4_264 Depth=3
	v_cmp_ne_u32_e32 vcc, 0, v31
	v_mov_b32_e32 v27, 0
	s_and_saveexec_b64 s[50:51], vcc
	s_cbranch_execz .LBB4_588
; %bb.583:                              ;   in Loop: Header=BB4_264 Depth=3
	v_bfe_u32 v22, v31, 23, 8
	v_sub_u32_e32 v27, 0x79, v22
	v_cmp_gt_u32_e32 vcc, s63, v22
	v_cndmask_b32_e32 v27, 0, v27, vcc
	v_cmp_eq_u32_e32 vcc, 0, v22
	v_cndmask_b32_e32 v27, v27, v6, vcc
	v_add_u32_e32 v23, 0xffffff81, v22
	v_add_u32_e32 v22, 20, v27
	v_or_b32_e32 v31, 0x800000, v16
	v_cndmask_b32_e32 v33, v23, v30, vcc
	v_lshlrev_b64 v[22:23], v22, -1
	v_cndmask_b32_e32 v16, v31, v16, vcc
	v_not_b32_e32 v22, v22
	v_not_b32_e32 v23, v23
	v_and_b32_e32 v36, v16, v22
	v_add_u32_e32 v22, 19, v27
	v_lshrrev_b64 v[16:17], v27, v[16:17]
	v_and_b32_e32 v37, 0, v23
	v_lshlrev_b64 v[50:51], v22, 1
	v_bfe_u32 v23, v16, 20, 1
	v_add_u32_e32 v23, -1, v23
	v_cmp_eq_u64_e32 vcc, v[36:37], v[50:51]
	v_cndmask_b32_e32 v23, 0, v23, vcc
	v_add_u32_e32 v23, v23, v16
	v_lshrrev_b32_e32 v22, 23, v16
	v_and_b32_e32 v23, 0xfffff, v23
	v_add3_u32 v22, v27, v33, v22
	v_add_co_u32_e32 v16, vcc, v23, v16
	v_add_u32_e32 v31, 6, v22
	v_addc_co_u32_e32 v17, vcc, 0, v17, vcc
	v_cmp_ne_u32_e32 vcc, 0, v31
                                        ; implicit-def: $vgpr27
	s_and_saveexec_b64 s[18:19], vcc
	s_xor_b64 s[18:19], exec, s[18:19]
; %bb.584:                              ;   in Loop: Header=BB4_264 Depth=3
	v_add_u32_e32 v22, 7, v22
	v_cmp_lt_u64_e32 vcc, s[40:41], v[16:17]
	v_cndmask_b32_e32 v27, v31, v22, vcc
	v_cndmask_b32_e64 v22, 0, 1, vcc
	v_lshrrev_b64 v[16:17], v22, v[16:17]
; %bb.585:                              ;   in Loop: Header=BB4_264 Depth=3
	s_andn2_saveexec_b64 s[18:19], s[18:19]
; %bb.586:                              ;   in Loop: Header=BB4_264 Depth=3
	v_bfe_u32 v27, v16, 23, 1
; %bb.587:                              ;   in Loop: Header=BB4_264 Depth=3
	s_or_b64 exec, exec, s[18:19]
	v_lshrrev_b64 v[16:17], 20, v[16:17]
	v_cmp_gt_i32_e32 vcc, 16, v27
	v_cndmask_b32_e32 v17, 0, v17, vcc
	v_cndmask_b32_e32 v16, 7, v16, vcc
	v_cmp_eq_u64_e64 s[18:19], 0, v[16:17]
	v_min_i32_e32 v17, 15, v27
	v_lshlrev_b32_e32 v17, 3, v17
	v_cmp_eq_u32_e32 vcc, 0, v27
	v_and_b32_e32 v17, 0xf8, v17
	v_and_or_b32 v16, v16, 7, v17
	s_and_b64 s[18:19], vcc, s[18:19]
	v_cndmask_b32_e64 v16, v16, 0, s[18:19]
	v_or_b32_e32 v27, v16, v2
.LBB4_588:                              ;   in Loop: Header=BB4_264 Depth=3
	s_or_b64 exec, exec, s[50:51]
.LBB4_589:                              ;   in Loop: Header=BB4_264 Depth=3
	s_or_b64 exec, exec, s[48:49]
                                        ; implicit-def: $vgpr31
                                        ; implicit-def: $vgpr16_vgpr17
.LBB4_590:                              ;   in Loop: Header=BB4_264 Depth=3
	s_andn2_saveexec_b64 s[18:19], s[46:47]
; %bb.591:                              ;   in Loop: Header=BB4_264 Depth=3
	v_or_b32_sdwa v2, v31, s62 dst_sel:DWORD dst_unused:UNUSED_PAD src0_sel:BYTE_3 src1_sel:DWORD
	v_cmp_eq_u64_e32 vcc, 0, v[16:17]
	v_cndmask_b32_e32 v27, v2, v27, vcc
; %bb.592:                              ;   in Loop: Header=BB4_264 Depth=3
	s_or_b64 exec, exec, s[18:19]
	v_and_b32_e32 v16, 0xff000000, v18
	v_mov_b32_e32 v17, v43
	v_cmp_ne_u64_e32 vcc, 0, v[16:17]
	v_mov_b32_e32 v16, 0
	v_mov_b32_e32 v17, 0
	s_and_saveexec_b64 s[18:19], vcc
	s_cbranch_execz .LBB4_598
; %bb.593:                              ;   in Loop: Header=BB4_264 Depth=3
	v_lshrrev_b32_e32 v2, 24, v18
	v_cmp_ne_u32_e32 vcc, s61, v2
	v_bfrev_b32_e32 v17, 1
	s_and_saveexec_b64 s[46:47], vcc
	s_cbranch_execz .LBB4_597
; %bb.594:                              ;   in Loop: Header=BB4_264 Depth=3
	v_bfe_u32 v18, v18, 24, 7
	v_cmp_ne_u32_e32 vcc, s62, v18
	v_mov_b32_e32 v17, 0x7f800001
	s_and_saveexec_b64 s[48:49], vcc
	s_cbranch_execz .LBB4_596
; %bb.595:                              ;   in Loop: Header=BB4_264 Depth=3
	v_and_b32_e32 v17, 7, v2
	v_ffbh_u32_e32 v22, v17
	v_min_u32_e32 v33, 32, v22
	v_subrev_u32_e32 v22, 28, v33
	v_lshlrev_b64 v[22:23], v22, v[2:3]
	v_lshrrev_b32_e32 v31, 3, v18
	v_sub_u32_e32 v23, 29, v33
	v_and_b32_e32 v22, 7, v22
	v_cmp_gt_u32_e32 vcc, 8, v18
	v_cndmask_b32_e32 v18, v31, v23, vcc
	v_cndmask_b32_e32 v17, v17, v22, vcc
	v_lshlrev_b32_e32 v2, 24, v2
	v_lshlrev_b32_e32 v17, 20, v17
	v_and_b32_e32 v2, 0x80000000, v2
	v_lshl_add_u32 v18, v18, 23, v47
	v_or3_b32 v17, v2, v18, v17
.LBB4_596:                              ;   in Loop: Header=BB4_264 Depth=3
	s_or_b64 exec, exec, s[48:49]
.LBB4_597:                              ;   in Loop: Header=BB4_264 Depth=3
	s_or_b64 exec, exec, s[46:47]
.LBB4_598:                              ;   in Loop: Header=BB4_264 Depth=3
	s_or_b64 exec, exec, s[18:19]
	v_cmp_lt_u32_e32 vcc, s64, v42
	s_and_saveexec_b64 s[18:19], vcc
	s_cbranch_execz .LBB4_604
; %bb.599:                              ;   in Loop: Header=BB4_264 Depth=3
	v_lshrrev_b32_e32 v2, 24, v42
	v_cmp_ne_u32_sdwa vcc, v42, s61 src0_sel:BYTE_3 src1_sel:DWORD
	v_bfrev_b32_e32 v16, 1
	s_and_saveexec_b64 s[46:47], vcc
	s_cbranch_execz .LBB4_603
; %bb.600:                              ;   in Loop: Header=BB4_264 Depth=3
	v_bfe_u32 v18, v42, 24, 7
	v_cmp_ne_u32_e32 vcc, s62, v18
	v_mov_b32_e32 v16, 0x7f800001
	s_and_saveexec_b64 s[48:49], vcc
	s_cbranch_execz .LBB4_602
; %bb.601:                              ;   in Loop: Header=BB4_264 Depth=3
	v_and_b32_e32 v16, 7, v2
	v_ffbh_u32_e32 v22, v16
	v_min_u32_e32 v33, 32, v22
	v_subrev_u32_e32 v22, 28, v33
	v_lshlrev_b64 v[22:23], v22, v[2:3]
	v_lshrrev_b32_e32 v31, 3, v18
	v_sub_u32_e32 v2, 29, v33
	v_and_b32_e32 v22, 7, v22
	v_cmp_gt_u32_e32 vcc, 8, v18
	v_cndmask_b32_e32 v2, v31, v2, vcc
	v_cndmask_b32_e32 v16, v16, v22, vcc
	v_lshlrev_b32_sdwa v18, v7, v42 dst_sel:DWORD dst_unused:UNUSED_PAD src0_sel:DWORD src1_sel:BYTE_3
	v_lshlrev_b32_e32 v16, 20, v16
	v_and_b32_e32 v18, 0x80000000, v18
	v_lshl_add_u32 v2, v2, 23, v47
	v_or3_b32 v16, v18, v2, v16
.LBB4_602:                              ;   in Loop: Header=BB4_264 Depth=3
	s_or_b64 exec, exec, s[48:49]
.LBB4_603:                              ;   in Loop: Header=BB4_264 Depth=3
	s_or_b64 exec, exec, s[46:47]
.LBB4_604:                              ;   in Loop: Header=BB4_264 Depth=3
	s_or_b64 exec, exec, s[18:19]
	v_add_f32_e32 v17, v17, v16
	v_and_b32_sdwa v2, v17, s61 dst_sel:DWORD dst_unused:UNUSED_PAD src0_sel:BYTE_3 src1_sel:DWORD
	v_and_b32_e32 v22, 0x7f800000, v17
	v_mov_b32_e32 v23, v43
	v_and_b32_e32 v42, 0x7fffff, v17
	v_or_b32_e32 v16, 0x7e, v2
	v_cmp_ne_u64_e32 vcc, s[36:37], v[22:23]
	s_and_saveexec_b64 s[18:19], vcc
	s_xor_b64 s[46:47], exec, s[18:19]
	s_cbranch_execz .LBB4_614
; %bb.605:                              ;   in Loop: Header=BB4_264 Depth=3
	v_and_b32_e32 v22, 0x7fffffff, v17
	v_mov_b32_e32 v23, v43
	v_cmp_gt_u64_e32 vcc, s[38:39], v[22:23]
	s_and_saveexec_b64 s[48:49], vcc
	s_cbranch_execz .LBB4_613
; %bb.606:                              ;   in Loop: Header=BB4_264 Depth=3
	v_cmp_ne_u32_e32 vcc, 0, v17
	v_mov_b32_e32 v16, 0
	s_and_saveexec_b64 s[50:51], vcc
	s_cbranch_execz .LBB4_612
; %bb.607:                              ;   in Loop: Header=BB4_264 Depth=3
	v_bfe_u32 v16, v17, 23, 8
	v_sub_u32_e32 v18, 0x79, v16
	v_cmp_gt_u32_e32 vcc, s63, v16
	v_cndmask_b32_e32 v18, 0, v18, vcc
	v_cmp_eq_u32_e32 vcc, 0, v16
	v_or_b32_e32 v22, 0x800000, v42
	v_cndmask_b32_e32 v18, v18, v6, vcc
	v_add_u32_e32 v17, 0xffffff81, v16
	v_cndmask_b32_e32 v42, v22, v42, vcc
	v_add_u32_e32 v16, 20, v18
	v_cndmask_b32_e32 v23, v17, v30, vcc
	v_lshlrev_b64 v[16:17], v16, -1
	v_add_u32_e32 v22, 19, v18
	v_lshrrev_b64 v[50:51], v18, v[42:43]
	v_not_b32_e32 v17, v17
	v_not_b32_e32 v16, v16
	v_lshlrev_b64 v[36:37], v22, 1
	v_lshrrev_b32_e32 v22, 23, v50
	v_and_b32_e32 v17, 0, v17
	v_and_b32_e32 v16, v42, v16
	v_add3_u32 v22, v18, v23, v22
	v_bfe_u32 v18, v50, 20, 1
	v_add_u32_e32 v18, -1, v18
	v_cmp_eq_u64_e32 vcc, v[16:17], v[36:37]
	v_cndmask_b32_e32 v16, 0, v18, vcc
	v_add_u32_e32 v16, v16, v50
	v_and_b32_e32 v16, 0xfffff, v16
	v_add_co_u32_e32 v16, vcc, v16, v50
	v_add_u32_e32 v31, 6, v22
	v_addc_co_u32_e32 v17, vcc, 0, v51, vcc
	v_cmp_ne_u32_e32 vcc, 0, v31
                                        ; implicit-def: $vgpr18
	s_and_saveexec_b64 s[18:19], vcc
	s_xor_b64 s[18:19], exec, s[18:19]
; %bb.608:                              ;   in Loop: Header=BB4_264 Depth=3
	v_cmp_lt_u64_e32 vcc, s[40:41], v[16:17]
	v_add_u32_e32 v18, 7, v22
	v_cndmask_b32_e64 v22, 0, 1, vcc
	v_cndmask_b32_e32 v18, v31, v18, vcc
	v_lshrrev_b64 v[16:17], v22, v[16:17]
; %bb.609:                              ;   in Loop: Header=BB4_264 Depth=3
	s_andn2_saveexec_b64 s[18:19], s[18:19]
; %bb.610:                              ;   in Loop: Header=BB4_264 Depth=3
	v_bfe_u32 v18, v16, 23, 1
; %bb.611:                              ;   in Loop: Header=BB4_264 Depth=3
	s_or_b64 exec, exec, s[18:19]
	v_lshrrev_b64 v[16:17], 20, v[16:17]
	v_cmp_gt_i32_e32 vcc, 16, v18
	v_cndmask_b32_e32 v17, 0, v17, vcc
	v_cndmask_b32_e32 v16, 7, v16, vcc
	v_cmp_eq_u64_e64 s[18:19], 0, v[16:17]
	v_min_i32_e32 v17, 15, v18
	v_lshlrev_b32_e32 v17, 3, v17
	v_cmp_eq_u32_e32 vcc, 0, v18
	v_and_b32_e32 v17, 0xf8, v17
	v_and_or_b32 v16, v16, 7, v17
	s_and_b64 s[18:19], vcc, s[18:19]
	v_cndmask_b32_e64 v16, v16, 0, s[18:19]
	v_or_b32_e32 v16, v16, v2
.LBB4_612:                              ;   in Loop: Header=BB4_264 Depth=3
	s_or_b64 exec, exec, s[50:51]
.LBB4_613:                              ;   in Loop: Header=BB4_264 Depth=3
	s_or_b64 exec, exec, s[48:49]
                                        ; implicit-def: $vgpr17
.LBB4_614:                              ;   in Loop: Header=BB4_264 Depth=3
	s_andn2_saveexec_b64 s[18:19], s[46:47]
	s_cbranch_execz .LBB4_263
; %bb.615:                              ;   in Loop: Header=BB4_264 Depth=3
	v_or_b32_sdwa v2, v17, s62 dst_sel:DWORD dst_unused:UNUSED_PAD src0_sel:BYTE_3 src1_sel:DWORD
	v_cmp_eq_u64_e32 vcc, 0, v[42:43]
	v_cndmask_b32_e32 v16, v2, v16, vcc
	s_branch .LBB4_263
.LBB4_616:                              ;   in Loop: Header=BB4_220 Depth=2
	s_or_b64 exec, exec, s[44:45]
	v_accvgpr_read_b32 v8, a44
	v_accvgpr_read_b32 v9, a45
	s_or_b64 exec, exec, s[42:43]
	s_and_saveexec_b64 s[18:19], s[10:11]
	s_cbranch_execz .LBB4_224
.LBB4_617:                              ;   in Loop: Header=BB4_220 Depth=2
	s_and_saveexec_b64 vcc, s[28:29]
	s_xor_b64 s[42:43], exec, vcc
	s_cbranch_execz .LBB4_632
; %bb.618:                              ;   in Loop: Header=BB4_220 Depth=2
	s_and_saveexec_b64 s[44:45], s[12:13]
	s_cbranch_execz .LBB4_631
; %bb.619:                              ;   in Loop: Header=BB4_220 Depth=2
	s_mov_b64 s[48:49], exec
	v_mbcnt_lo_u32_b32 v1, s48, 0
	v_mbcnt_hi_u32_b32 v1, s49, v1
	v_cmp_eq_u32_e32 vcc, 0, v1
	s_waitcnt vmcnt(0) lgkmcnt(0)
	buffer_wbinvl1_vol
	s_and_saveexec_b64 s[46:47], vcc
	s_cbranch_execz .LBB4_621
; %bb.620:                              ;   in Loop: Header=BB4_220 Depth=2
	s_bcnt1_i32_b64 vcc_lo, s[48:49]
	v_mov_b32_e32 v42, vcc_lo
	ds_add_u64 v0, v[42:43]
	s_trap 2
.LBB4_621:                              ;   in Loop: Header=BB4_220 Depth=2
	s_or_b64 exec, exec, s[46:47]
	s_trap 2
	ds_read_b64 v[2:3], v0
	v_accvgpr_read_b32 v4, a32
	v_add_co_u32_e32 v54, vcc, v54, v4
	v_accvgpr_read_b32 v1, a29
	v_addc_co_u32_e32 v55, vcc, v55, v1, vcc
	s_waitcnt lgkmcnt(0)
	v_cmp_lt_u64_e32 vcc, v[2:3], v[54:55]
	s_and_saveexec_b64 s[46:47], vcc
	s_cbranch_execz .LBB4_630
; %bb.622:                              ;   in Loop: Header=BB4_220 Depth=2
	s_mov_b32 s71, 0
	s_mov_b64 s[48:49], 0
                                        ; implicit-def: $sgpr50_sgpr51
                                        ; implicit-def: $sgpr52_sgpr53
	s_branch .LBB4_624
.LBB4_623:                              ;   in Loop: Header=BB4_624 Depth=3
	s_or_b64 exec, exec, s[56:57]
	s_and_b64 vcc, exec, vcc
	s_or_b64 s[48:49], vcc, s[48:49]
	s_andn2_b64 vcc, s[50:51], exec
	s_and_b64 s[50:51], s[52:53], exec
	s_or_b64 s[50:51], vcc, s[50:51]
	s_andn2_b64 exec, exec, s[48:49]
	s_cbranch_execz .LBB4_628
.LBB4_624:                              ;   Parent Loop BB4_27 Depth=1
                                        ;     Parent Loop BB4_220 Depth=2
                                        ; =>    This Inner Loop Header: Depth=3
	s_add_i32 s71, s71, 1
	s_cmpk_lg_i32 s71, 0x2710
	s_cselect_b64 s[54:55], -1, 0
	s_and_b64 vcc, exec, s[54:55]
                                        ; implicit-def: $sgpr56_sgpr57
	s_cbranch_vccnz .LBB4_626
; %bb.625:                              ;   in Loop: Header=BB4_624 Depth=3
	s_trap 2
	ds_read_b64 v[2:3], v0
	s_andn2_b64 s[54:55], s[54:55], exec
	s_mov_b32 s71, 0
	s_mov_b64 s[56:57], -1
	s_waitcnt lgkmcnt(0)
	flat_load_dword v1, v[2:3] glc
	s_waitcnt vmcnt(0) lgkmcnt(0)
	buffer_invl2
	buffer_wbinvl1_vol
	v_cmp_eq_u32_e32 vcc, 0, v1
	s_and_b64 vcc, vcc, exec
	s_or_b64 s[54:55], s[54:55], vcc
.LBB4_626:                              ;   in Loop: Header=BB4_624 Depth=3
	s_andn2_b64 s[52:53], s[52:53], exec
	s_and_b64 s[56:57], s[56:57], exec
	s_mov_b64 vcc, -1
	s_or_b64 s[52:53], s[52:53], s[56:57]
	s_and_saveexec_b64 s[56:57], s[54:55]
	s_cbranch_execz .LBB4_623
; %bb.627:                              ;   in Loop: Header=BB4_624 Depth=3
	s_sleep 1
	s_trap 2
	ds_read_b64 v[2:3], v0
	s_andn2_b64 s[52:53], s[52:53], exec
	s_waitcnt lgkmcnt(0)
	v_cmp_ge_u64_e32 vcc, v[2:3], v[54:55]
	s_orn2_b64 vcc, vcc, exec
	s_branch .LBB4_623
.LBB4_628:                              ;   in Loop: Header=BB4_220 Depth=2
	s_or_b64 exec, exec, s[48:49]
	s_and_saveexec_b64 vcc, s[50:51]
	s_xor_b64 vcc, exec, vcc
	s_cbranch_execz .LBB4_630
; %bb.629:                              ;   in Loop: Header=BB4_220 Depth=2
	v_mov_b32_e32 v1, 1
	ds_write_b32 v0, v1
	s_trap 2
.LBB4_630:                              ;   in Loop: Header=BB4_220 Depth=2
	s_or_b64 exec, exec, s[46:47]
	;;#ASMSTART
	s_wakeup
	;;#ASMEND
.LBB4_631:                              ;   in Loop: Header=BB4_220 Depth=2
	s_or_b64 exec, exec, s[44:45]
.LBB4_632:                              ;   in Loop: Header=BB4_220 Depth=2
	s_andn2_saveexec_b64 vcc, s[42:43]
	s_cbranch_execz .LBB4_634
; %bb.633:                              ;   in Loop: Header=BB4_220 Depth=2
	s_waitcnt vmcnt(0) lgkmcnt(0)
	buffer_wbinvl1_vol
	s_barrier
.LBB4_634:                              ;   in Loop: Header=BB4_220 Depth=2
	s_or_b64 exec, exec, vcc
	s_or_b64 exec, exec, s[18:19]
	s_and_saveexec_b64 s[18:19], s[14:15]
	s_cbranch_execnz .LBB4_225
	s_branch .LBB4_226
.LBB4_635:                              ;   in Loop: Header=BB4_27 Depth=1
	s_waitcnt vmcnt(0) lgkmcnt(0)
	v_accvgpr_read_b32 v2, a10
	v_accvgpr_read_b32 v3, a11
	v_pk_mov_b32 v[16:17], v[28:29], v[28:29] op_sel:[0,1]
	s_and_saveexec_b64 s[18:19], s[16:17]
	s_cbranch_execnz .LBB4_637
	s_branch .LBB4_1010
.LBB4_636:                              ;   in Loop: Header=BB4_27 Depth=1
	s_waitcnt vmcnt(0) lgkmcnt(0)
	v_accvgpr_read_b32 v2, a10
	v_accvgpr_read_b32 v3, a11
	v_pk_mov_b32 v[16:17], v[28:29], v[28:29] op_sel:[0,1]
	v_accvgpr_read_b32 v38, a39
	v_accvgpr_read_b32 v4, a47
	;; [unrolled: 1-line block ×3, first 2 shown]
	s_and_saveexec_b64 s[18:19], s[16:17]
	s_cbranch_execz .LBB4_1010
.LBB4_637:                              ;   in Loop: Header=BB4_27 Depth=1
	v_accvgpr_read_b32 v0, a6
	v_accvgpr_read_b32 v1, a7
	flat_load_dword v8, v[0:1]
	v_accvgpr_read_b32 v2, a12
	v_accvgpr_read_b32 v3, a13
	v_add_co_u32_e32 v2, vcc, v2, v4
	v_addc_co_u32_e32 v3, vcc, v3, v5, vcc
	v_accvgpr_read_b32 v0, a37
	v_add_co_u32_e32 v0, vcc, v0, v4
	v_and_b32_e32 v4, 7, v34
	v_accvgpr_read_b32 v1, a38
	v_mul_lo_u32 v4, v4, s58
	v_addc_co_u32_e32 v1, vcc, v1, v5, vcc
	v_ashrrev_i32_e32 v5, 31, v4
	v_lshlrev_b64 v[4:5], 4, v[4:5]
	v_accvgpr_read_b32 v10, a18
	v_accvgpr_read_b32 v11, a19
	v_add_co_u32_e32 v29, vcc, v10, v4
	v_addc_co_u32_e32 v41, vcc, v11, v5, vcc
	v_accvgpr_read_b32 v5, a28
	v_accvgpr_read_b32 v9, a3
	v_add_u32_e32 v28, 1, v34
	s_mov_b64 s[42:43], 0
	v_accvgpr_read_b32 v26, a2
	s_waitcnt vmcnt(0) lgkmcnt(0)
	v_ashrrev_i32_e32 v4, 31, v8
	v_mul_lo_u32 v5, v5, v8
	v_mad_u64_u32 v[2:3], s[16:17], v9, v8, v[2:3]
	v_mul_lo_u32 v4, v9, v4
	v_add3_u32 v3, v5, v3, v4
	v_accvgpr_read_b32 v4, a34
	v_add_co_u32_e32 v18, vcc, v2, v4
	v_accvgpr_read_b32 v5, a33
	v_addc_co_u32_e32 v19, vcc, v3, v5, vcc
	s_branch .LBB4_639
.LBB4_638:                              ;   in Loop: Header=BB4_639 Depth=2
	v_add_co_u32_e32 v18, vcc, v18, v56
	v_addc_co_u32_e32 v19, vcc, v19, v45, vcc
	v_add_co_u32_e32 v0, vcc, v0, v56
	v_addc_co_u32_e32 v1, vcc, v1, v45, vcc
	v_sub_u32_e32 v32, v32, v56
	v_cmp_gt_i32_e32 vcc, 1, v32
	s_or_b64 s[42:43], vcc, s[42:43]
	v_add_u32_e32 v26, v26, v20
	s_andn2_b64 exec, exec, s[42:43]
	s_cbranch_execz .LBB4_1009
.LBB4_639:                              ;   Parent Loop BB4_27 Depth=1
                                        ; =>  This Loop Header: Depth=2
                                        ;       Child Loop BB4_647 Depth 3
	v_and_b32_e32 v2, -4, v18
	v_mov_b32_e32 v3, v19
	global_load_dword v8, v[2:3], off glc slc
	v_min_u32_e32 v4, 8, v32
	v_and_b32_e32 v5, 3, v18
	v_add_co_u32_e32 v4, vcc, v5, v4
	v_addc_co_u32_e64 v5, s[16:17], 0, 0, vcc
	v_mov_b32_e32 v9, 0
	v_cmp_lt_u64_e32 vcc, 4, v[4:5]
	v_mov_b32_e32 v33, 0
	s_and_saveexec_b64 s[16:17], vcc
	s_cbranch_execz .LBB4_641
; %bb.640:                              ;   in Loop: Header=BB4_639 Depth=2
	global_load_dword v33, v[2:3], off offset:4 glc slc
.LBB4_641:                              ;   in Loop: Header=BB4_639 Depth=2
	s_or_b64 exec, exec, s[16:17]
	v_cmp_lt_u64_e32 vcc, 8, v[4:5]
	s_and_saveexec_b64 s[16:17], vcc
	s_cbranch_execz .LBB4_643
; %bb.642:                              ;   in Loop: Header=BB4_639 Depth=2
	global_load_dword v9, v[2:3], off offset:8 glc slc
.LBB4_643:                              ;   in Loop: Header=BB4_639 Depth=2
	s_or_b64 exec, exec, s[16:17]
	v_ashrrev_i32_e32 v27, 31, v26
	v_lshlrev_b64 v[2:3], 4, v[26:27]
	v_add_co_u32_e32 v10, vcc, v29, v2
	v_addc_co_u32_e32 v11, vcc, v41, v3, vcc
	global_load_dwordx4 v[2:5], v[10:11], off glc slc
	v_cmp_eq_u32_e32 vcc, 0, v40
	s_and_saveexec_b64 s[44:45], vcc
	s_cbranch_execz .LBB4_655
; %bb.644:                              ;   in Loop: Header=BB4_639 Depth=2
	s_waitcnt vmcnt(0)
	v_cmp_ne_u32_e32 vcc, v28, v3
	v_cmp_ne_u32_e64 s[16:17], v28, v5
	s_or_b64 s[16:17], vcc, s[16:17]
	v_mov_b32_e32 v40, 0
	s_and_saveexec_b64 s[46:47], s[16:17]
	s_cbranch_execz .LBB4_654
; %bb.645:                              ;   in Loop: Header=BB4_639 Depth=2
	s_mov_b32 s52, 1
	s_mov_b64 s[48:49], 0
	v_mov_b32_e32 v40, 0
	s_branch .LBB4_647
.LBB4_646:                              ;   in Loop: Header=BB4_647 Depth=3
	s_or_b64 exec, exec, s[50:51]
	s_and_b64 s[16:17], exec, s[16:17]
	s_or_b64 s[48:49], s[16:17], s[48:49]
	s_andn2_b64 exec, exec, s[48:49]
	s_cbranch_execz .LBB4_653
.LBB4_647:                              ;   Parent Loop BB4_27 Depth=1
                                        ;     Parent Loop BB4_639 Depth=2
                                        ; =>    This Inner Loop Header: Depth=3
	global_load_dwordx4 v[2:5], v[10:11], off glc slc
	s_add_i32 s52, s52, 1
	s_cmpk_lg_i32 s52, 0x2710
	s_cbranch_scc1 .LBB4_651
; %bb.648:                              ;   in Loop: Header=BB4_647 Depth=3
	s_trap 2
	ds_read_b64 v[22:23], v0
	s_waitcnt vmcnt(0) lgkmcnt(0)
	flat_load_dword v21, v[22:23] glc
	s_waitcnt vmcnt(0) lgkmcnt(0)
	buffer_invl2
	buffer_wbinvl1_vol
	v_cmp_ne_u32_e32 vcc, 0, v21
	s_and_saveexec_b64 s[16:17], vcc
	s_cbranch_execz .LBB4_650
; %bb.649:                              ;   in Loop: Header=BB4_647 Depth=3
	v_mov_b32_e32 v40, 1
	ds_write_b32 v0, v21
	s_trap 2
.LBB4_650:                              ;   in Loop: Header=BB4_647 Depth=3
	s_or_b64 exec, exec, s[16:17]
	s_mov_b32 s52, 0
	v_mov_b32_e32 v21, v40
	v_cmp_eq_u32_e32 vcc, 0, v21
	s_mov_b64 s[16:17], -1
	s_and_saveexec_b64 s[50:51], vcc
	s_cbranch_execz .LBB4_646
	s_branch .LBB4_652
.LBB4_651:                              ;   in Loop: Header=BB4_647 Depth=3
	v_mov_b32_e32 v21, 0
	v_cmp_eq_u32_e32 vcc, 0, v21
	s_mov_b64 s[16:17], -1
	s_and_saveexec_b64 s[50:51], vcc
	s_cbranch_execz .LBB4_646
.LBB4_652:                              ;   in Loop: Header=BB4_647 Depth=3
	s_waitcnt vmcnt(0)
	v_cmp_eq_u32_e32 vcc, v28, v3
	v_cmp_eq_u32_e64 s[16:17], v28, v5
	s_and_b64 s[16:17], vcc, s[16:17]
	s_orn2_b64 s[16:17], s[16:17], exec
	s_branch .LBB4_646
.LBB4_653:                              ;   in Loop: Header=BB4_639 Depth=2
	s_or_b64 exec, exec, s[48:49]
.LBB4_654:                              ;   in Loop: Header=BB4_639 Depth=2
	s_or_b64 exec, exec, s[46:47]
.LBB4_655:                              ;   in Loop: Header=BB4_639 Depth=2
	s_or_b64 exec, exec, s[44:45]
	v_lshlrev_b32_e32 v27, 3, v18
	s_waitcnt vmcnt(0)
	v_alignbit_b32 v42, v33, v8, v27
	v_cmp_ne_u16_sdwa vcc, v42, v43 src0_sel:BYTE_0 src1_sel:DWORD
	v_mov_b32_e32 v8, 0
	s_and_saveexec_b64 s[16:17], vcc
	s_cbranch_execz .LBB4_661
; %bb.656:                              ;   in Loop: Header=BB4_639 Depth=2
	v_cmp_ne_u16_sdwa vcc, v42, s61 src0_sel:BYTE_0 src1_sel:DWORD
	v_bfrev_b32_e32 v8, 1
	s_and_saveexec_b64 s[44:45], vcc
	s_cbranch_execz .LBB4_660
; %bb.657:                              ;   in Loop: Header=BB4_639 Depth=2
	v_and_b32_e32 v10, 0x7f, v42
	v_cmp_ne_u32_e32 vcc, s62, v10
	v_mov_b32_e32 v8, 0x7f800001
	s_and_saveexec_b64 s[46:47], vcc
	s_cbranch_execz .LBB4_659
; %bb.658:                              ;   in Loop: Header=BB4_639 Depth=2
	v_and_b32_e32 v8, 7, v42
	v_ffbh_u32_e32 v8, v8
	v_min_u32_e32 v8, 32, v8
	v_subrev_u32_e32 v21, 28, v8
	v_cmp_gt_u32_e32 vcc, 8, v10
	v_lshrrev_b32_e32 v11, 3, v10
	v_sub_u32_e32 v8, 29, v8
	v_cndmask_b32_e32 v10, 0, v21, vcc
	v_cndmask_b32_e32 v8, v11, v8, vcc
	v_lshlrev_b64 v[10:11], v10, v[42:43]
	v_lshlrev_b32_e32 v10, 20, v10
	v_lshlrev_b32_e32 v11, 24, v42
	v_and_b32_e32 v10, 0x700000, v10
	v_and_b32_e32 v11, 0x80000000, v11
	v_lshl_add_u32 v8, v8, 23, v47
	v_or3_b32 v8, v11, v8, v10
.LBB4_659:                              ;   in Loop: Header=BB4_639 Depth=2
	s_or_b64 exec, exec, s[46:47]
.LBB4_660:                              ;   in Loop: Header=BB4_639 Depth=2
	s_or_b64 exec, exec, s[44:45]
.LBB4_661:                              ;   in Loop: Header=BB4_639 Depth=2
	s_or_b64 exec, exec, s[16:17]
	v_mul_f32_e32 v24, v62, v8
	v_and_b32_sdwa v21, v24, s61 dst_sel:DWORD dst_unused:UNUSED_PAD src0_sel:BYTE_3 src1_sel:DWORD
	v_and_b32_e32 v22, 0x7f800000, v24
	v_mov_b32_e32 v23, v43
	v_and_b32_e32 v10, 0x7fffff, v24
	v_mov_b32_e32 v11, v43
	v_or_b32_e32 v8, 0x7e, v21
	v_cmp_ne_u64_e32 vcc, s[36:37], v[22:23]
	s_and_saveexec_b64 s[16:17], vcc
	s_xor_b64 s[44:45], exec, s[16:17]
	s_cbranch_execz .LBB4_671
; %bb.662:                              ;   in Loop: Header=BB4_639 Depth=2
	v_and_b32_e32 v22, 0x7fffffff, v24
	v_mov_b32_e32 v23, v43
	v_cmp_gt_u64_e32 vcc, s[38:39], v[22:23]
	s_and_saveexec_b64 s[46:47], vcc
	s_cbranch_execz .LBB4_670
; %bb.663:                              ;   in Loop: Header=BB4_639 Depth=2
	v_cmp_ne_u32_e32 vcc, 0, v24
	v_mov_b32_e32 v8, 0
	s_and_saveexec_b64 s[48:49], vcc
	s_cbranch_execz .LBB4_669
; %bb.664:                              ;   in Loop: Header=BB4_639 Depth=2
	v_bfe_u32 v8, v24, 23, 8
	v_sub_u32_e32 v23, 0x79, v8
	v_cmp_gt_u32_e32 vcc, s63, v8
	v_cndmask_b32_e32 v23, 0, v23, vcc
	v_cmp_eq_u32_e32 vcc, 0, v8
	v_add_u32_e32 v22, 0xffffff81, v8
	v_cndmask_b32_e32 v25, v23, v6, vcc
	v_cndmask_b32_e32 v8, v22, v30, vcc
	v_add_u32_e32 v22, 20, v25
	v_or_b32_e32 v24, 0x800000, v10
	v_lshlrev_b64 v[22:23], v22, -1
	v_cndmask_b32_e32 v10, v24, v10, vcc
	v_not_b32_e32 v22, v22
	v_and_b32_e32 v22, v10, v22
	v_add_u32_e32 v24, 19, v25
	v_lshrrev_b64 v[10:11], v25, v[10:11]
	v_not_b32_e32 v23, v23
	v_lshlrev_b64 v[48:49], v24, 1
	v_lshrrev_b32_e32 v24, 23, v10
	v_and_b32_e32 v23, 0, v23
	v_add3_u32 v25, v25, v8, v24
	v_bfe_u32 v8, v10, 20, 1
	v_add_u32_e32 v8, -1, v8
	v_cmp_eq_u64_e32 vcc, v[22:23], v[48:49]
	v_cndmask_b32_e32 v8, 0, v8, vcc
	v_add_u32_e32 v8, v8, v10
	v_and_b32_e32 v8, 0xfffff, v8
	v_add_co_u32_e32 v10, vcc, v8, v10
	v_add_u32_e32 v24, 6, v25
	v_addc_co_u32_e32 v11, vcc, 0, v11, vcc
	v_cmp_ne_u32_e32 vcc, 0, v24
                                        ; implicit-def: $vgpr8
	s_and_saveexec_b64 s[16:17], vcc
	s_xor_b64 s[16:17], exec, s[16:17]
; %bb.665:                              ;   in Loop: Header=BB4_639 Depth=2
	v_cmp_lt_u64_e32 vcc, s[40:41], v[10:11]
	v_add_u32_e32 v8, 7, v25
	v_cndmask_b32_e64 v22, 0, 1, vcc
	v_cndmask_b32_e32 v8, v24, v8, vcc
	v_lshrrev_b64 v[10:11], v22, v[10:11]
; %bb.666:                              ;   in Loop: Header=BB4_639 Depth=2
	s_andn2_saveexec_b64 s[16:17], s[16:17]
; %bb.667:                              ;   in Loop: Header=BB4_639 Depth=2
	v_bfe_u32 v8, v10, 23, 1
; %bb.668:                              ;   in Loop: Header=BB4_639 Depth=2
	s_or_b64 exec, exec, s[16:17]
	v_lshrrev_b64 v[10:11], 20, v[10:11]
	v_cmp_gt_i32_e32 vcc, 16, v8
	v_cndmask_b32_e32 v11, 0, v11, vcc
	v_cndmask_b32_e32 v10, 7, v10, vcc
	v_cmp_eq_u32_e32 vcc, 0, v8
	v_min_i32_e32 v8, 15, v8
	v_cmp_eq_u64_e64 s[16:17], 0, v[10:11]
	v_lshlrev_b32_e32 v8, 3, v8
	v_and_or_b32 v8, v10, 7, v8
	s_and_b64 s[16:17], vcc, s[16:17]
	v_cndmask_b32_e64 v8, v8, 0, s[16:17]
	v_or_b32_e32 v8, v8, v21
.LBB4_669:                              ;   in Loop: Header=BB4_639 Depth=2
	s_or_b64 exec, exec, s[48:49]
.LBB4_670:                              ;   in Loop: Header=BB4_639 Depth=2
	s_or_b64 exec, exec, s[46:47]
                                        ; implicit-def: $vgpr24
                                        ; implicit-def: $vgpr10_vgpr11
.LBB4_671:                              ;   in Loop: Header=BB4_639 Depth=2
	s_andn2_saveexec_b64 s[16:17], s[44:45]
; %bb.672:                              ;   in Loop: Header=BB4_639 Depth=2
	v_or_b32_sdwa v21, v24, s62 dst_sel:DWORD dst_unused:UNUSED_PAD src0_sel:BYTE_3 src1_sel:DWORD
	v_cmp_eq_u64_e32 vcc, 0, v[10:11]
	v_cndmask_b32_e32 v8, v21, v8, vcc
; %bb.673:                              ;   in Loop: Header=BB4_639 Depth=2
	s_or_b64 exec, exec, s[16:17]
	v_lshrrev_b16_e32 v10, 8, v42
	v_cmp_ne_u16_e32 vcc, 0, v10
	v_mov_b32_e32 v11, 0
	s_and_saveexec_b64 s[16:17], vcc
	s_cbranch_execz .LBB4_679
; %bb.674:                              ;   in Loop: Header=BB4_639 Depth=2
	v_cmp_ne_u16_e32 vcc, s61, v10
	v_bfrev_b32_e32 v11, 1
	s_and_saveexec_b64 s[44:45], vcc
	s_cbranch_execz .LBB4_678
; %bb.675:                              ;   in Loop: Header=BB4_639 Depth=2
	v_and_b32_e32 v21, 0x7f, v10
	v_cmp_ne_u32_e32 vcc, s62, v21
	v_mov_b32_e32 v11, 0x7f800001
	s_and_saveexec_b64 s[46:47], vcc
	s_cbranch_execz .LBB4_677
; %bb.676:                              ;   in Loop: Header=BB4_639 Depth=2
	v_and_b32_e32 v22, 7, v10
	v_ffbh_u32_e32 v11, v22
	v_min_u32_e32 v24, 32, v11
	v_subrev_u32_e32 v11, 28, v24
	v_lshlrev_b64 v[10:11], v11, v[10:11]
	v_lshrrev_b32_e32 v23, 3, v21
	v_sub_u32_e32 v11, 29, v24
	v_and_b32_e32 v10, 7, v10
	v_cmp_gt_u32_e32 vcc, 8, v21
	v_cndmask_b32_e32 v11, v23, v11, vcc
	v_cndmask_b32_e32 v10, v22, v10, vcc
	v_lshlrev_b32_e32 v21, 16, v42
	v_lshlrev_b32_e32 v10, 20, v10
	v_and_b32_e32 v21, 0x80000000, v21
	v_lshl_add_u32 v11, v11, 23, v47
	v_or3_b32 v11, v21, v11, v10
.LBB4_677:                              ;   in Loop: Header=BB4_639 Depth=2
	s_or_b64 exec, exec, s[46:47]
.LBB4_678:                              ;   in Loop: Header=BB4_639 Depth=2
	s_or_b64 exec, exec, s[44:45]
.LBB4_679:                              ;   in Loop: Header=BB4_639 Depth=2
	s_or_b64 exec, exec, s[16:17]
	v_mul_f32_e32 v24, v62, v11
	v_and_b32_sdwa v21, v24, s61 dst_sel:DWORD dst_unused:UNUSED_PAD src0_sel:BYTE_3 src1_sel:DWORD
	v_and_b32_e32 v22, 0x7f800000, v24
	v_mov_b32_e32 v23, v43
	v_and_b32_e32 v10, 0x7fffff, v24
	v_mov_b32_e32 v11, v43
	v_or_b32_e32 v31, 0x7e, v21
	v_cmp_ne_u64_e32 vcc, s[36:37], v[22:23]
	s_and_saveexec_b64 s[16:17], vcc
	s_xor_b64 s[44:45], exec, s[16:17]
	s_cbranch_execz .LBB4_689
; %bb.680:                              ;   in Loop: Header=BB4_639 Depth=2
	v_and_b32_e32 v22, 0x7fffffff, v24
	v_mov_b32_e32 v23, v43
	v_cmp_gt_u64_e32 vcc, s[38:39], v[22:23]
	s_and_saveexec_b64 s[46:47], vcc
	s_cbranch_execz .LBB4_688
; %bb.681:                              ;   in Loop: Header=BB4_639 Depth=2
	v_cmp_ne_u32_e32 vcc, 0, v24
	v_mov_b32_e32 v31, 0
	s_and_saveexec_b64 s[48:49], vcc
	s_cbranch_execz .LBB4_687
; %bb.682:                              ;   in Loop: Header=BB4_639 Depth=2
	v_bfe_u32 v22, v24, 23, 8
	v_sub_u32_e32 v24, 0x79, v22
	v_cmp_gt_u32_e32 vcc, s63, v22
	v_cndmask_b32_e32 v24, 0, v24, vcc
	v_cmp_eq_u32_e32 vcc, 0, v22
	v_cndmask_b32_e32 v24, v24, v6, vcc
	v_add_u32_e32 v23, 0xffffff81, v22
	v_add_u32_e32 v22, 20, v24
	v_or_b32_e32 v25, 0x800000, v10
	v_cndmask_b32_e32 v31, v23, v30, vcc
	v_lshlrev_b64 v[22:23], v22, -1
	v_cndmask_b32_e32 v10, v25, v10, vcc
	v_not_b32_e32 v22, v22
	v_and_b32_e32 v22, v10, v22
	v_add_u32_e32 v25, 19, v24
	v_lshrrev_b64 v[10:11], v24, v[10:11]
	v_not_b32_e32 v23, v23
	v_lshlrev_b64 v[48:49], v25, 1
	v_lshrrev_b32_e32 v25, 23, v10
	v_and_b32_e32 v23, 0, v23
	v_add3_u32 v31, v24, v31, v25
	v_bfe_u32 v24, v10, 20, 1
	v_add_u32_e32 v24, -1, v24
	v_cmp_eq_u64_e32 vcc, v[22:23], v[48:49]
	v_cndmask_b32_e32 v22, 0, v24, vcc
	v_add_u32_e32 v22, v22, v10
	v_and_b32_e32 v22, 0xfffff, v22
	v_add_co_u32_e32 v10, vcc, v22, v10
	v_add_u32_e32 v25, 6, v31
	v_addc_co_u32_e32 v11, vcc, 0, v11, vcc
	v_cmp_ne_u32_e32 vcc, 0, v25
                                        ; implicit-def: $vgpr24
	s_and_saveexec_b64 s[16:17], vcc
	s_xor_b64 s[16:17], exec, s[16:17]
; %bb.683:                              ;   in Loop: Header=BB4_639 Depth=2
	v_add_u32_e32 v22, 7, v31
	v_cmp_lt_u64_e32 vcc, s[40:41], v[10:11]
	v_cndmask_b32_e32 v24, v25, v22, vcc
	v_cndmask_b32_e64 v22, 0, 1, vcc
	v_lshrrev_b64 v[10:11], v22, v[10:11]
; %bb.684:                              ;   in Loop: Header=BB4_639 Depth=2
	s_andn2_saveexec_b64 s[16:17], s[16:17]
; %bb.685:                              ;   in Loop: Header=BB4_639 Depth=2
	v_bfe_u32 v24, v10, 23, 1
; %bb.686:                              ;   in Loop: Header=BB4_639 Depth=2
	s_or_b64 exec, exec, s[16:17]
	v_lshrrev_b64 v[10:11], 20, v[10:11]
	v_cmp_gt_i32_e32 vcc, 16, v24
	v_cndmask_b32_e32 v11, 0, v11, vcc
	v_cndmask_b32_e32 v10, 7, v10, vcc
	v_cmp_eq_u64_e64 s[16:17], 0, v[10:11]
	v_min_i32_e32 v11, 15, v24
	v_cmp_eq_u32_e32 vcc, 0, v24
	v_lshlrev_b32_e32 v11, 3, v11
	v_and_or_b32 v10, v10, 7, v11
	s_and_b64 s[16:17], vcc, s[16:17]
	v_cndmask_b32_e64 v10, v10, 0, s[16:17]
	v_or_b32_e32 v31, v10, v21
.LBB4_687:                              ;   in Loop: Header=BB4_639 Depth=2
	s_or_b64 exec, exec, s[48:49]
.LBB4_688:                              ;   in Loop: Header=BB4_639 Depth=2
	s_or_b64 exec, exec, s[46:47]
                                        ; implicit-def: $vgpr24
                                        ; implicit-def: $vgpr10_vgpr11
.LBB4_689:                              ;   in Loop: Header=BB4_639 Depth=2
	s_andn2_saveexec_b64 s[16:17], s[44:45]
; %bb.690:                              ;   in Loop: Header=BB4_639 Depth=2
	v_or_b32_sdwa v21, v24, s62 dst_sel:DWORD dst_unused:UNUSED_PAD src0_sel:BYTE_3 src1_sel:DWORD
	v_cmp_eq_u64_e32 vcc, 0, v[10:11]
	v_cndmask_b32_e32 v31, v21, v31, vcc
; %bb.691:                              ;   in Loop: Header=BB4_639 Depth=2
	s_or_b64 exec, exec, s[16:17]
	v_and_b32_sdwa v21, v42, s60 dst_sel:DWORD dst_unused:UNUSED_PAD src0_sel:WORD_1 src1_sel:DWORD
	v_lshrrev_b32_e32 v10, 16, v42
	v_cmp_ne_u16_e32 vcc, 0, v21
	v_mov_b32_e32 v11, 0
	s_and_saveexec_b64 s[16:17], vcc
	s_cbranch_execz .LBB4_697
; %bb.692:                              ;   in Loop: Header=BB4_639 Depth=2
	v_cmp_ne_u16_e32 vcc, s61, v21
	v_bfrev_b32_e32 v11, 1
	s_and_saveexec_b64 s[44:45], vcc
	s_cbranch_execz .LBB4_696
; %bb.693:                              ;   in Loop: Header=BB4_639 Depth=2
	v_bfe_u32 v21, v42, 16, 7
	v_cmp_ne_u32_e32 vcc, s62, v21
	v_mov_b32_e32 v11, 0x7f800001
	s_and_saveexec_b64 s[46:47], vcc
	s_cbranch_execz .LBB4_695
; %bb.694:                              ;   in Loop: Header=BB4_639 Depth=2
	v_and_b32_e32 v22, 7, v10
	v_ffbh_u32_e32 v11, v22
	v_min_u32_e32 v24, 32, v11
	v_subrev_u32_e32 v11, 28, v24
	v_lshlrev_b64 v[10:11], v11, v[10:11]
	v_lshrrev_b32_e32 v23, 3, v21
	v_sub_u32_e32 v11, 29, v24
	v_and_b32_e32 v10, 7, v10
	v_cmp_gt_u32_e32 vcc, 8, v21
	v_cndmask_b32_e32 v11, v23, v11, vcc
	v_cndmask_b32_e32 v10, v22, v10, vcc
	v_lshlrev_b32_sdwa v21, v7, v42 dst_sel:DWORD dst_unused:UNUSED_PAD src0_sel:DWORD src1_sel:WORD_1
	v_lshlrev_b32_e32 v10, 20, v10
	v_and_b32_e32 v21, 0x80000000, v21
	v_lshl_add_u32 v11, v11, 23, v47
	v_or3_b32 v11, v21, v11, v10
.LBB4_695:                              ;   in Loop: Header=BB4_639 Depth=2
	s_or_b64 exec, exec, s[46:47]
.LBB4_696:                              ;   in Loop: Header=BB4_639 Depth=2
	s_or_b64 exec, exec, s[44:45]
.LBB4_697:                              ;   in Loop: Header=BB4_639 Depth=2
	s_or_b64 exec, exec, s[16:17]
	v_mul_f32_e32 v11, v62, v11
	v_and_b32_sdwa v21, v11, s61 dst_sel:DWORD dst_unused:UNUSED_PAD src0_sel:BYTE_3 src1_sel:DWORD
	v_and_b32_e32 v22, 0x7f800000, v11
	v_mov_b32_e32 v23, v43
	v_and_b32_e32 v24, 0x7fffff, v11
	v_mov_b32_e32 v25, v43
	v_or_b32_e32 v10, 0x7e, v21
	v_cmp_ne_u64_e32 vcc, s[36:37], v[22:23]
	s_and_saveexec_b64 s[16:17], vcc
	s_xor_b64 s[44:45], exec, s[16:17]
	s_cbranch_execz .LBB4_707
; %bb.698:                              ;   in Loop: Header=BB4_639 Depth=2
	v_and_b32_e32 v22, 0x7fffffff, v11
	v_mov_b32_e32 v23, v43
	v_cmp_gt_u64_e32 vcc, s[38:39], v[22:23]
	s_and_saveexec_b64 s[46:47], vcc
	s_cbranch_execz .LBB4_706
; %bb.699:                              ;   in Loop: Header=BB4_639 Depth=2
	v_cmp_ne_u32_e32 vcc, 0, v11
	v_mov_b32_e32 v10, 0
	s_and_saveexec_b64 s[48:49], vcc
	s_cbranch_execz .LBB4_705
; %bb.700:                              ;   in Loop: Header=BB4_639 Depth=2
	v_bfe_u32 v10, v11, 23, 8
	v_sub_u32_e32 v22, 0x79, v10
	v_cmp_gt_u32_e32 vcc, s63, v10
	v_cndmask_b32_e32 v22, 0, v22, vcc
	v_cmp_eq_u32_e32 vcc, 0, v10
	v_cndmask_b32_e32 v37, v22, v6, vcc
	v_add_u32_e32 v11, 0xffffff81, v10
	v_or_b32_e32 v23, 0x800000, v24
	v_add_u32_e32 v10, 20, v37
	v_cndmask_b32_e32 v36, v11, v30, vcc
	v_cndmask_b32_e32 v24, v23, v24, vcc
	v_lshlrev_b64 v[10:11], v10, -1
	v_not_b32_e32 v10, v10
	v_lshrrev_b64 v[60:61], v37, v[24:25]
	v_not_b32_e32 v11, v11
	v_and_b32_e32 v10, v24, v10
	v_add_u32_e32 v22, 19, v37
	v_lshrrev_b32_e32 v24, 23, v60
	v_and_b32_e32 v11, 0, v11
	v_lshlrev_b64 v[22:23], v22, 1
	v_add3_u32 v48, v37, v36, v24
	v_bfe_u32 v24, v60, 20, 1
	v_add_u32_e32 v24, -1, v24
	v_cmp_eq_u64_e32 vcc, v[10:11], v[22:23]
	v_cndmask_b32_e32 v10, 0, v24, vcc
	v_add_u32_e32 v10, v10, v60
	v_and_b32_e32 v10, 0xfffff, v10
	v_add_co_u32_e32 v10, vcc, v10, v60
	v_add_u32_e32 v25, 6, v48
	v_addc_co_u32_e32 v11, vcc, 0, v61, vcc
	v_cmp_ne_u32_e32 vcc, 0, v25
                                        ; implicit-def: $vgpr24
	s_and_saveexec_b64 s[16:17], vcc
	s_xor_b64 s[16:17], exec, s[16:17]
; %bb.701:                              ;   in Loop: Header=BB4_639 Depth=2
	v_add_u32_e32 v22, 7, v48
	v_cmp_lt_u64_e32 vcc, s[40:41], v[10:11]
	v_cndmask_b32_e32 v24, v25, v22, vcc
	v_cndmask_b32_e64 v22, 0, 1, vcc
	v_lshrrev_b64 v[10:11], v22, v[10:11]
; %bb.702:                              ;   in Loop: Header=BB4_639 Depth=2
	s_andn2_saveexec_b64 s[16:17], s[16:17]
; %bb.703:                              ;   in Loop: Header=BB4_639 Depth=2
	v_bfe_u32 v24, v10, 23, 1
; %bb.704:                              ;   in Loop: Header=BB4_639 Depth=2
	s_or_b64 exec, exec, s[16:17]
	v_lshrrev_b64 v[10:11], 20, v[10:11]
	v_cmp_gt_i32_e32 vcc, 16, v24
	v_cndmask_b32_e32 v11, 0, v11, vcc
	v_cndmask_b32_e32 v10, 7, v10, vcc
	v_cmp_eq_u64_e64 s[16:17], 0, v[10:11]
	v_min_i32_e32 v11, 15, v24
	v_cmp_eq_u32_e32 vcc, 0, v24
	v_lshlrev_b32_e32 v11, 3, v11
	v_and_or_b32 v10, v10, 7, v11
	s_and_b64 s[16:17], vcc, s[16:17]
	v_cndmask_b32_e64 v10, v10, 0, s[16:17]
	v_or_b32_e32 v10, v10, v21
.LBB4_705:                              ;   in Loop: Header=BB4_639 Depth=2
	s_or_b64 exec, exec, s[48:49]
.LBB4_706:                              ;   in Loop: Header=BB4_639 Depth=2
	s_or_b64 exec, exec, s[46:47]
                                        ; implicit-def: $vgpr11
                                        ; implicit-def: $vgpr24_vgpr25
.LBB4_707:                              ;   in Loop: Header=BB4_639 Depth=2
	s_andn2_saveexec_b64 s[16:17], s[44:45]
; %bb.708:                              ;   in Loop: Header=BB4_639 Depth=2
	v_or_b32_sdwa v11, v11, s62 dst_sel:DWORD dst_unused:UNUSED_PAD src0_sel:BYTE_3 src1_sel:DWORD
	v_cmp_eq_u64_e32 vcc, 0, v[24:25]
	v_cndmask_b32_e32 v10, v11, v10, vcc
; %bb.709:                              ;   in Loop: Header=BB4_639 Depth=2
	s_or_b64 exec, exec, s[16:17]
	v_cmp_lt_u32_e32 vcc, s64, v42
	v_mov_b32_e32 v11, 0
	s_and_saveexec_b64 s[16:17], vcc
	s_cbranch_execz .LBB4_715
; %bb.710:                              ;   in Loop: Header=BB4_639 Depth=2
	v_lshrrev_b32_e32 v24, 24, v42
	v_cmp_ne_u32_sdwa vcc, v42, s61 src0_sel:BYTE_3 src1_sel:DWORD
	v_bfrev_b32_e32 v11, 1
	s_and_saveexec_b64 s[44:45], vcc
	s_cbranch_execz .LBB4_714
; %bb.711:                              ;   in Loop: Header=BB4_639 Depth=2
	v_bfe_u32 v21, v42, 24, 7
	v_cmp_ne_u32_e32 vcc, s62, v21
	v_mov_b32_e32 v11, 0x7f800001
	s_and_saveexec_b64 s[46:47], vcc
	s_cbranch_execz .LBB4_713
; %bb.712:                              ;   in Loop: Header=BB4_639 Depth=2
	v_and_b32_e32 v11, 7, v24
	v_ffbh_u32_e32 v22, v11
	v_min_u32_e32 v36, 32, v22
	v_lshrrev_b32_e32 v25, 3, v21
	v_subrev_u32_e32 v22, 28, v36
	v_lshlrev_b64 v[22:23], v22, v[24:25]
	v_sub_u32_e32 v23, 29, v36
	v_and_b32_e32 v22, 7, v22
	v_cmp_gt_u32_e32 vcc, 8, v21
	v_cndmask_b32_e32 v21, v25, v23, vcc
	v_cndmask_b32_e32 v11, v11, v22, vcc
	v_lshlrev_b32_sdwa v22, v7, v42 dst_sel:DWORD dst_unused:UNUSED_PAD src0_sel:DWORD src1_sel:BYTE_3
	v_lshlrev_b32_e32 v11, 20, v11
	v_and_b32_e32 v22, 0x80000000, v22
	v_lshl_add_u32 v21, v21, 23, v47
	v_or3_b32 v11, v22, v21, v11
.LBB4_713:                              ;   in Loop: Header=BB4_639 Depth=2
	s_or_b64 exec, exec, s[46:47]
.LBB4_714:                              ;   in Loop: Header=BB4_639 Depth=2
	s_or_b64 exec, exec, s[44:45]
.LBB4_715:                              ;   in Loop: Header=BB4_639 Depth=2
	s_or_b64 exec, exec, s[16:17]
	v_mul_f32_e32 v24, v62, v11
	v_and_b32_sdwa v11, v24, s61 dst_sel:DWORD dst_unused:UNUSED_PAD src0_sel:BYTE_3 src1_sel:DWORD
	v_and_b32_e32 v22, 0x7f800000, v24
	v_mov_b32_e32 v23, v43
	v_and_b32_e32 v42, 0x7fffff, v24
	v_or_b32_e32 v21, 0x7e, v11
	v_cmp_ne_u64_e32 vcc, s[36:37], v[22:23]
	s_and_saveexec_b64 s[16:17], vcc
	s_xor_b64 s[44:45], exec, s[16:17]
	s_cbranch_execz .LBB4_725
; %bb.716:                              ;   in Loop: Header=BB4_639 Depth=2
	v_and_b32_e32 v22, 0x7fffffff, v24
	v_mov_b32_e32 v23, v43
	v_cmp_gt_u64_e32 vcc, s[38:39], v[22:23]
	s_and_saveexec_b64 s[46:47], vcc
	s_cbranch_execz .LBB4_724
; %bb.717:                              ;   in Loop: Header=BB4_639 Depth=2
	v_cmp_ne_u32_e32 vcc, 0, v24
	v_mov_b32_e32 v21, 0
	s_and_saveexec_b64 s[48:49], vcc
	s_cbranch_execz .LBB4_723
; %bb.718:                              ;   in Loop: Header=BB4_639 Depth=2
	v_bfe_u32 v21, v24, 23, 8
	v_sub_u32_e32 v23, 0x79, v21
	v_cmp_gt_u32_e32 vcc, s63, v21
	v_cndmask_b32_e32 v23, 0, v23, vcc
	v_cmp_eq_u32_e32 vcc, 0, v21
	v_add_u32_e32 v22, 0xffffff81, v21
	v_or_b32_e32 v24, 0x800000, v42
	v_cndmask_b32_e32 v36, v23, v6, vcc
	v_cndmask_b32_e32 v21, v22, v30, vcc
	;; [unrolled: 1-line block ×3, first 2 shown]
	v_add_u32_e32 v22, 20, v36
	v_lshlrev_b64 v[22:23], v22, -1
	v_lshrrev_b64 v[60:61], v36, v[42:43]
	v_not_b32_e32 v23, v23
	v_not_b32_e32 v22, v22
	v_add_u32_e32 v24, 19, v36
	v_lshrrev_b32_e32 v37, 23, v60
	v_and_b32_e32 v23, 0, v23
	v_and_b32_e32 v22, v42, v22
	v_lshlrev_b64 v[24:25], v24, 1
	v_add3_u32 v49, v36, v21, v37
	v_bfe_u32 v21, v60, 20, 1
	v_add_u32_e32 v21, -1, v21
	v_cmp_eq_u64_e32 vcc, v[22:23], v[24:25]
	v_cndmask_b32_e32 v21, 0, v21, vcc
	v_add_u32_e32 v21, v21, v60
	v_and_b32_e32 v21, 0xfffff, v21
	v_add_co_u32_e32 v24, vcc, v21, v60
	v_add_u32_e32 v48, 6, v49
	v_addc_co_u32_e32 v25, vcc, 0, v61, vcc
	v_cmp_ne_u32_e32 vcc, 0, v48
                                        ; implicit-def: $vgpr21
	s_and_saveexec_b64 s[16:17], vcc
	s_xor_b64 s[16:17], exec, s[16:17]
; %bb.719:                              ;   in Loop: Header=BB4_639 Depth=2
	v_cmp_lt_u64_e32 vcc, s[40:41], v[24:25]
	v_add_u32_e32 v21, 7, v49
	v_cndmask_b32_e64 v22, 0, 1, vcc
	v_cndmask_b32_e32 v21, v48, v21, vcc
	v_lshrrev_b64 v[24:25], v22, v[24:25]
; %bb.720:                              ;   in Loop: Header=BB4_639 Depth=2
	s_andn2_saveexec_b64 s[16:17], s[16:17]
; %bb.721:                              ;   in Loop: Header=BB4_639 Depth=2
	v_bfe_u32 v21, v24, 23, 1
; %bb.722:                              ;   in Loop: Header=BB4_639 Depth=2
	s_or_b64 exec, exec, s[16:17]
	v_lshrrev_b64 v[22:23], 20, v[24:25]
	v_cmp_gt_i32_e32 vcc, 16, v21
	v_cndmask_b32_e32 v23, 0, v23, vcc
	v_cndmask_b32_e32 v22, 7, v22, vcc
	v_cmp_eq_u32_e32 vcc, 0, v21
	v_min_i32_e32 v21, 15, v21
	v_cmp_eq_u64_e64 s[16:17], 0, v[22:23]
	v_lshlrev_b32_e32 v21, 3, v21
	v_and_or_b32 v21, v22, 7, v21
	s_and_b64 s[16:17], vcc, s[16:17]
	v_cndmask_b32_e64 v21, v21, 0, s[16:17]
	v_or_b32_e32 v21, v21, v11
.LBB4_723:                              ;   in Loop: Header=BB4_639 Depth=2
	s_or_b64 exec, exec, s[48:49]
.LBB4_724:                              ;   in Loop: Header=BB4_639 Depth=2
	s_or_b64 exec, exec, s[46:47]
                                        ; implicit-def: $vgpr24
.LBB4_725:                              ;   in Loop: Header=BB4_639 Depth=2
	s_andn2_saveexec_b64 s[16:17], s[44:45]
; %bb.726:                              ;   in Loop: Header=BB4_639 Depth=2
	v_or_b32_sdwa v11, v24, s62 dst_sel:DWORD dst_unused:UNUSED_PAD src0_sel:BYTE_3 src1_sel:DWORD
	v_cmp_eq_u64_e32 vcc, 0, v[42:43]
	v_cndmask_b32_e32 v21, v11, v21, vcc
; %bb.727:                              ;   in Loop: Header=BB4_639 Depth=2
	s_or_b64 exec, exec, s[16:17]
	v_alignbit_b32 v42, v9, v33, v27
	v_cmp_ne_u16_sdwa vcc, v42, v43 src0_sel:BYTE_0 src1_sel:DWORD
	v_mov_b32_e32 v9, 0
	s_and_saveexec_b64 s[16:17], vcc
	s_cbranch_execz .LBB4_733
; %bb.728:                              ;   in Loop: Header=BB4_639 Depth=2
	v_cmp_ne_u16_sdwa vcc, v42, s61 src0_sel:BYTE_0 src1_sel:DWORD
	v_bfrev_b32_e32 v9, 1
	s_and_saveexec_b64 s[44:45], vcc
	s_cbranch_execz .LBB4_732
; %bb.729:                              ;   in Loop: Header=BB4_639 Depth=2
	v_and_b32_e32 v11, 0x7f, v42
	v_cmp_ne_u32_e32 vcc, s62, v11
	v_mov_b32_e32 v9, 0x7f800001
	s_and_saveexec_b64 s[46:47], vcc
	s_cbranch_execz .LBB4_731
; %bb.730:                              ;   in Loop: Header=BB4_639 Depth=2
	v_and_b32_e32 v9, 7, v42
	v_ffbh_u32_e32 v9, v9
	v_min_u32_e32 v9, 32, v9
	v_subrev_u32_e32 v23, 28, v9
	v_cmp_gt_u32_e32 vcc, 8, v11
	v_lshrrev_b32_e32 v22, 3, v11
	v_sub_u32_e32 v9, 29, v9
	v_cndmask_b32_e32 v11, 0, v23, vcc
	v_cndmask_b32_e32 v9, v22, v9, vcc
	v_lshlrev_b64 v[22:23], v11, v[42:43]
	v_lshlrev_b32_e32 v11, 20, v22
	v_lshlrev_b32_e32 v22, 24, v42
	v_and_b32_e32 v11, 0x700000, v11
	v_and_b32_e32 v22, 0x80000000, v22
	v_lshl_add_u32 v9, v9, 23, v47
	v_or3_b32 v9, v22, v9, v11
.LBB4_731:                              ;   in Loop: Header=BB4_639 Depth=2
	s_or_b64 exec, exec, s[46:47]
.LBB4_732:                              ;   in Loop: Header=BB4_639 Depth=2
	s_or_b64 exec, exec, s[44:45]
.LBB4_733:                              ;   in Loop: Header=BB4_639 Depth=2
	s_or_b64 exec, exec, s[16:17]
	v_mul_f32_e32 v27, v62, v9
	v_and_b32_sdwa v11, v27, s61 dst_sel:DWORD dst_unused:UNUSED_PAD src0_sel:BYTE_3 src1_sel:DWORD
	v_and_b32_e32 v22, 0x7f800000, v27
	v_mov_b32_e32 v23, v43
	v_and_b32_e32 v24, 0x7fffff, v27
	v_mov_b32_e32 v25, v43
	v_or_b32_e32 v9, 0x7e, v11
	v_cmp_ne_u64_e32 vcc, s[36:37], v[22:23]
	s_and_saveexec_b64 s[16:17], vcc
	s_xor_b64 s[44:45], exec, s[16:17]
	s_cbranch_execz .LBB4_743
; %bb.734:                              ;   in Loop: Header=BB4_639 Depth=2
	v_and_b32_e32 v22, 0x7fffffff, v27
	v_mov_b32_e32 v23, v43
	v_cmp_gt_u64_e32 vcc, s[38:39], v[22:23]
	s_and_saveexec_b64 s[46:47], vcc
	s_cbranch_execz .LBB4_742
; %bb.735:                              ;   in Loop: Header=BB4_639 Depth=2
	v_cmp_ne_u32_e32 vcc, 0, v27
	v_mov_b32_e32 v9, 0
	s_and_saveexec_b64 s[48:49], vcc
	s_cbranch_execz .LBB4_741
; %bb.736:                              ;   in Loop: Header=BB4_639 Depth=2
	v_bfe_u32 v9, v27, 23, 8
	v_sub_u32_e32 v23, 0x79, v9
	v_cmp_gt_u32_e32 vcc, s63, v9
	v_cndmask_b32_e32 v23, 0, v23, vcc
	v_cmp_eq_u32_e32 vcc, 0, v9
	v_add_u32_e32 v22, 0xffffff81, v9
	v_cndmask_b32_e32 v33, v23, v6, vcc
	v_cndmask_b32_e32 v9, v22, v30, vcc
	v_add_u32_e32 v22, 20, v33
	v_or_b32_e32 v27, 0x800000, v24
	v_lshlrev_b64 v[22:23], v22, -1
	v_cndmask_b32_e32 v24, v27, v24, vcc
	v_not_b32_e32 v22, v22
	v_and_b32_e32 v22, v24, v22
	v_add_u32_e32 v27, 19, v33
	v_lshrrev_b64 v[24:25], v33, v[24:25]
	v_not_b32_e32 v23, v23
	v_lshlrev_b64 v[48:49], v27, 1
	v_lshrrev_b32_e32 v27, 23, v24
	v_and_b32_e32 v23, 0, v23
	v_add3_u32 v33, v33, v9, v27
	v_bfe_u32 v9, v24, 20, 1
	v_add_u32_e32 v9, -1, v9
	v_cmp_eq_u64_e32 vcc, v[22:23], v[48:49]
	v_cndmask_b32_e32 v9, 0, v9, vcc
	v_add_u32_e32 v9, v9, v24
	v_and_b32_e32 v9, 0xfffff, v9
	v_add_co_u32_e32 v24, vcc, v9, v24
	v_add_u32_e32 v27, 6, v33
	v_addc_co_u32_e32 v25, vcc, 0, v25, vcc
	v_cmp_ne_u32_e32 vcc, 0, v27
                                        ; implicit-def: $vgpr9
	s_and_saveexec_b64 s[16:17], vcc
	s_xor_b64 s[16:17], exec, s[16:17]
; %bb.737:                              ;   in Loop: Header=BB4_639 Depth=2
	v_cmp_lt_u64_e32 vcc, s[40:41], v[24:25]
	v_add_u32_e32 v9, 7, v33
	v_cndmask_b32_e64 v22, 0, 1, vcc
	v_cndmask_b32_e32 v9, v27, v9, vcc
	v_lshrrev_b64 v[24:25], v22, v[24:25]
; %bb.738:                              ;   in Loop: Header=BB4_639 Depth=2
	s_andn2_saveexec_b64 s[16:17], s[16:17]
; %bb.739:                              ;   in Loop: Header=BB4_639 Depth=2
	v_bfe_u32 v9, v24, 23, 1
; %bb.740:                              ;   in Loop: Header=BB4_639 Depth=2
	s_or_b64 exec, exec, s[16:17]
	v_lshrrev_b64 v[22:23], 20, v[24:25]
	v_cmp_gt_i32_e32 vcc, 16, v9
	v_cndmask_b32_e32 v23, 0, v23, vcc
	v_cndmask_b32_e32 v22, 7, v22, vcc
	v_cmp_eq_u32_e32 vcc, 0, v9
	v_min_i32_e32 v9, 15, v9
	v_cmp_eq_u64_e64 s[16:17], 0, v[22:23]
	v_lshlrev_b32_e32 v9, 3, v9
	v_and_or_b32 v9, v22, 7, v9
	s_and_b64 s[16:17], vcc, s[16:17]
	v_cndmask_b32_e64 v9, v9, 0, s[16:17]
	v_or_b32_e32 v9, v9, v11
.LBB4_741:                              ;   in Loop: Header=BB4_639 Depth=2
	s_or_b64 exec, exec, s[48:49]
.LBB4_742:                              ;   in Loop: Header=BB4_639 Depth=2
	s_or_b64 exec, exec, s[46:47]
                                        ; implicit-def: $vgpr27
                                        ; implicit-def: $vgpr24_vgpr25
.LBB4_743:                              ;   in Loop: Header=BB4_639 Depth=2
	s_andn2_saveexec_b64 s[16:17], s[44:45]
; %bb.744:                              ;   in Loop: Header=BB4_639 Depth=2
	v_or_b32_sdwa v11, v27, s62 dst_sel:DWORD dst_unused:UNUSED_PAD src0_sel:BYTE_3 src1_sel:DWORD
	v_cmp_eq_u64_e32 vcc, 0, v[24:25]
	v_cndmask_b32_e32 v9, v11, v9, vcc
; %bb.745:                              ;   in Loop: Header=BB4_639 Depth=2
	s_or_b64 exec, exec, s[16:17]
	v_lshrrev_b16_e32 v24, 8, v42
	v_cmp_ne_u16_e32 vcc, 0, v24
	v_mov_b32_e32 v11, 0
	s_and_saveexec_b64 s[16:17], vcc
	s_cbranch_execz .LBB4_751
; %bb.746:                              ;   in Loop: Header=BB4_639 Depth=2
	v_cmp_ne_u16_e32 vcc, s61, v24
	v_bfrev_b32_e32 v11, 1
	s_and_saveexec_b64 s[44:45], vcc
	s_cbranch_execz .LBB4_750
; %bb.747:                              ;   in Loop: Header=BB4_639 Depth=2
	v_and_b32_e32 v22, 0x7f, v24
	v_cmp_ne_u32_e32 vcc, s62, v22
	v_mov_b32_e32 v11, 0x7f800001
	s_and_saveexec_b64 s[46:47], vcc
	s_cbranch_execz .LBB4_749
; %bb.748:                              ;   in Loop: Header=BB4_639 Depth=2
	v_and_b32_e32 v11, 7, v24
	v_ffbh_u32_e32 v25, v11
	v_min_u32_e32 v27, 32, v25
	v_subrev_u32_e32 v25, 28, v27
	v_lshlrev_b64 v[24:25], v25, v[24:25]
	v_lshrrev_b32_e32 v23, 3, v22
	v_sub_u32_e32 v25, 29, v27
	v_and_b32_e32 v24, 7, v24
	v_cmp_gt_u32_e32 vcc, 8, v22
	v_cndmask_b32_e32 v22, v23, v25, vcc
	v_cndmask_b32_e32 v11, v11, v24, vcc
	v_lshlrev_b32_e32 v23, 16, v42
	v_lshlrev_b32_e32 v11, 20, v11
	v_and_b32_e32 v23, 0x80000000, v23
	v_lshl_add_u32 v22, v22, 23, v47
	v_or3_b32 v11, v23, v22, v11
.LBB4_749:                              ;   in Loop: Header=BB4_639 Depth=2
	s_or_b64 exec, exec, s[46:47]
.LBB4_750:                              ;   in Loop: Header=BB4_639 Depth=2
	s_or_b64 exec, exec, s[44:45]
.LBB4_751:                              ;   in Loop: Header=BB4_639 Depth=2
	s_or_b64 exec, exec, s[16:17]
	v_mul_f32_e32 v33, v62, v11
	v_and_b32_sdwa v11, v33, s61 dst_sel:DWORD dst_unused:UNUSED_PAD src0_sel:BYTE_3 src1_sel:DWORD
	v_and_b32_e32 v22, 0x7f800000, v33
	v_mov_b32_e32 v23, v43
	v_and_b32_e32 v24, 0x7fffff, v33
	v_mov_b32_e32 v25, v43
	v_or_b32_e32 v27, 0x7e, v11
	v_cmp_ne_u64_e32 vcc, s[36:37], v[22:23]
	s_and_saveexec_b64 s[16:17], vcc
	s_xor_b64 s[44:45], exec, s[16:17]
	s_cbranch_execz .LBB4_761
; %bb.752:                              ;   in Loop: Header=BB4_639 Depth=2
	v_and_b32_e32 v22, 0x7fffffff, v33
	v_mov_b32_e32 v23, v43
	v_cmp_gt_u64_e32 vcc, s[38:39], v[22:23]
	s_and_saveexec_b64 s[46:47], vcc
	s_cbranch_execz .LBB4_760
; %bb.753:                              ;   in Loop: Header=BB4_639 Depth=2
	v_cmp_ne_u32_e32 vcc, 0, v33
	v_mov_b32_e32 v27, 0
	s_and_saveexec_b64 s[48:49], vcc
	s_cbranch_execz .LBB4_759
; %bb.754:                              ;   in Loop: Header=BB4_639 Depth=2
	v_bfe_u32 v22, v33, 23, 8
	v_sub_u32_e32 v27, 0x79, v22
	v_cmp_gt_u32_e32 vcc, s63, v22
	v_cndmask_b32_e32 v27, 0, v27, vcc
	v_cmp_eq_u32_e32 vcc, 0, v22
	v_cndmask_b32_e32 v27, v27, v6, vcc
	v_add_u32_e32 v23, 0xffffff81, v22
	v_add_u32_e32 v22, 20, v27
	v_or_b32_e32 v33, 0x800000, v24
	v_cndmask_b32_e32 v36, v23, v30, vcc
	v_lshlrev_b64 v[22:23], v22, -1
	v_cndmask_b32_e32 v24, v33, v24, vcc
	v_not_b32_e32 v22, v22
	v_and_b32_e32 v22, v24, v22
	v_add_u32_e32 v33, 19, v27
	v_lshrrev_b64 v[24:25], v27, v[24:25]
	v_not_b32_e32 v23, v23
	v_lshlrev_b64 v[60:61], v33, 1
	v_lshrrev_b32_e32 v33, 23, v24
	v_and_b32_e32 v23, 0, v23
	v_add3_u32 v48, v27, v36, v33
	v_bfe_u32 v27, v24, 20, 1
	v_add_u32_e32 v27, -1, v27
	v_cmp_eq_u64_e32 vcc, v[22:23], v[60:61]
	v_cndmask_b32_e32 v22, 0, v27, vcc
	v_add_u32_e32 v22, v22, v24
	v_and_b32_e32 v22, 0xfffff, v22
	v_add_co_u32_e32 v24, vcc, v22, v24
	v_add_u32_e32 v33, 6, v48
	v_addc_co_u32_e32 v25, vcc, 0, v25, vcc
	v_cmp_ne_u32_e32 vcc, 0, v33
                                        ; implicit-def: $vgpr27
	s_and_saveexec_b64 s[16:17], vcc
	s_xor_b64 s[16:17], exec, s[16:17]
; %bb.755:                              ;   in Loop: Header=BB4_639 Depth=2
	v_add_u32_e32 v22, 7, v48
	v_cmp_lt_u64_e32 vcc, s[40:41], v[24:25]
	v_cndmask_b32_e32 v27, v33, v22, vcc
	v_cndmask_b32_e64 v22, 0, 1, vcc
	v_lshrrev_b64 v[24:25], v22, v[24:25]
; %bb.756:                              ;   in Loop: Header=BB4_639 Depth=2
	s_andn2_saveexec_b64 s[16:17], s[16:17]
; %bb.757:                              ;   in Loop: Header=BB4_639 Depth=2
	v_bfe_u32 v27, v24, 23, 1
; %bb.758:                              ;   in Loop: Header=BB4_639 Depth=2
	s_or_b64 exec, exec, s[16:17]
	v_lshrrev_b64 v[22:23], 20, v[24:25]
	v_cmp_gt_i32_e32 vcc, 16, v27
	v_cndmask_b32_e32 v23, 0, v23, vcc
	v_cndmask_b32_e32 v22, 7, v22, vcc
	v_cmp_eq_u64_e64 s[16:17], 0, v[22:23]
	v_min_i32_e32 v23, 15, v27
	v_lshlrev_b32_e32 v23, 3, v23
	v_cmp_eq_u32_e32 vcc, 0, v27
	v_and_b32_e32 v23, 0xf8, v23
	v_and_or_b32 v22, v22, 7, v23
	s_and_b64 s[16:17], vcc, s[16:17]
	v_cndmask_b32_e64 v22, v22, 0, s[16:17]
	v_or_b32_e32 v27, v22, v11
.LBB4_759:                              ;   in Loop: Header=BB4_639 Depth=2
	s_or_b64 exec, exec, s[48:49]
.LBB4_760:                              ;   in Loop: Header=BB4_639 Depth=2
	s_or_b64 exec, exec, s[46:47]
                                        ; implicit-def: $vgpr33
                                        ; implicit-def: $vgpr24_vgpr25
.LBB4_761:                              ;   in Loop: Header=BB4_639 Depth=2
	s_andn2_saveexec_b64 s[16:17], s[44:45]
; %bb.762:                              ;   in Loop: Header=BB4_639 Depth=2
	v_or_b32_sdwa v11, v33, s62 dst_sel:DWORD dst_unused:UNUSED_PAD src0_sel:BYTE_3 src1_sel:DWORD
	v_cmp_eq_u64_e32 vcc, 0, v[24:25]
	v_cndmask_b32_e32 v27, v11, v27, vcc
; %bb.763:                              ;   in Loop: Header=BB4_639 Depth=2
	s_or_b64 exec, exec, s[16:17]
	v_and_b32_sdwa v22, v42, s60 dst_sel:DWORD dst_unused:UNUSED_PAD src0_sel:WORD_1 src1_sel:DWORD
	v_lshrrev_b32_e32 v24, 16, v42
	v_cmp_ne_u16_e32 vcc, 0, v22
	v_mov_b32_e32 v11, 0
	s_and_saveexec_b64 s[16:17], vcc
	s_cbranch_execz .LBB4_769
; %bb.764:                              ;   in Loop: Header=BB4_639 Depth=2
	v_cmp_ne_u16_e32 vcc, s61, v22
	v_bfrev_b32_e32 v11, 1
	s_and_saveexec_b64 s[44:45], vcc
	s_cbranch_execz .LBB4_768
; %bb.765:                              ;   in Loop: Header=BB4_639 Depth=2
	v_bfe_u32 v22, v42, 16, 7
	v_cmp_ne_u32_e32 vcc, s62, v22
	v_mov_b32_e32 v11, 0x7f800001
	s_and_saveexec_b64 s[46:47], vcc
	s_cbranch_execz .LBB4_767
; %bb.766:                              ;   in Loop: Header=BB4_639 Depth=2
	v_and_b32_e32 v11, 7, v24
	v_ffbh_u32_e32 v25, v11
	v_min_u32_e32 v33, 32, v25
	v_subrev_u32_e32 v25, 28, v33
	v_lshlrev_b64 v[24:25], v25, v[24:25]
	v_lshrrev_b32_e32 v23, 3, v22
	v_sub_u32_e32 v25, 29, v33
	v_and_b32_e32 v24, 7, v24
	v_cmp_gt_u32_e32 vcc, 8, v22
	v_cndmask_b32_e32 v22, v23, v25, vcc
	v_cndmask_b32_e32 v11, v11, v24, vcc
	v_lshlrev_b32_sdwa v23, v7, v42 dst_sel:DWORD dst_unused:UNUSED_PAD src0_sel:DWORD src1_sel:WORD_1
	v_lshlrev_b32_e32 v11, 20, v11
	v_and_b32_e32 v23, 0x80000000, v23
	v_lshl_add_u32 v22, v22, 23, v47
	v_or3_b32 v11, v23, v22, v11
.LBB4_767:                              ;   in Loop: Header=BB4_639 Depth=2
	s_or_b64 exec, exec, s[46:47]
.LBB4_768:                              ;   in Loop: Header=BB4_639 Depth=2
	s_or_b64 exec, exec, s[44:45]
.LBB4_769:                              ;   in Loop: Header=BB4_639 Depth=2
	s_or_b64 exec, exec, s[16:17]
	v_mul_f32_e32 v48, v62, v11
	v_and_b32_sdwa v11, v48, s61 dst_sel:DWORD dst_unused:UNUSED_PAD src0_sel:BYTE_3 src1_sel:DWORD
	v_and_b32_e32 v22, 0x7f800000, v48
	v_mov_b32_e32 v23, v43
	v_and_b32_e32 v24, 0x7fffff, v48
	v_mov_b32_e32 v25, v43
	v_or_b32_e32 v33, 0x7e, v11
	v_cmp_ne_u64_e32 vcc, s[36:37], v[22:23]
	s_and_saveexec_b64 s[16:17], vcc
	s_xor_b64 s[44:45], exec, s[16:17]
	s_cbranch_execz .LBB4_779
; %bb.770:                              ;   in Loop: Header=BB4_639 Depth=2
	v_and_b32_e32 v22, 0x7fffffff, v48
	v_mov_b32_e32 v23, v43
	v_cmp_gt_u64_e32 vcc, s[38:39], v[22:23]
	s_and_saveexec_b64 s[46:47], vcc
	s_cbranch_execz .LBB4_778
; %bb.771:                              ;   in Loop: Header=BB4_639 Depth=2
	v_cmp_ne_u32_e32 vcc, 0, v48
	v_mov_b32_e32 v33, 0
	s_and_saveexec_b64 s[48:49], vcc
	s_cbranch_execz .LBB4_777
; %bb.772:                              ;   in Loop: Header=BB4_639 Depth=2
	v_bfe_u32 v22, v48, 23, 8
	v_sub_u32_e32 v33, 0x79, v22
	v_cmp_gt_u32_e32 vcc, s63, v22
	v_cndmask_b32_e32 v33, 0, v33, vcc
	v_cmp_eq_u32_e32 vcc, 0, v22
	v_cndmask_b32_e32 v33, v33, v6, vcc
	v_add_u32_e32 v23, 0xffffff81, v22
	v_add_u32_e32 v22, 20, v33
	v_or_b32_e32 v36, 0x800000, v24
	v_cndmask_b32_e32 v37, v23, v30, vcc
	v_lshlrev_b64 v[22:23], v22, -1
	v_cndmask_b32_e32 v24, v36, v24, vcc
	v_not_b32_e32 v22, v22
	v_and_b32_e32 v22, v24, v22
	v_add_u32_e32 v36, 19, v33
	v_lshrrev_b64 v[24:25], v33, v[24:25]
	v_not_b32_e32 v23, v23
	v_lshlrev_b64 v[60:61], v36, 1
	v_lshrrev_b32_e32 v36, 23, v24
	v_and_b32_e32 v23, 0, v23
	v_add3_u32 v49, v33, v37, v36
	v_bfe_u32 v33, v24, 20, 1
	v_add_u32_e32 v33, -1, v33
	v_cmp_eq_u64_e32 vcc, v[22:23], v[60:61]
	v_cndmask_b32_e32 v22, 0, v33, vcc
	v_add_u32_e32 v22, v22, v24
	v_and_b32_e32 v22, 0xfffff, v22
	v_add_co_u32_e32 v24, vcc, v22, v24
	v_add_u32_e32 v48, 6, v49
	v_addc_co_u32_e32 v25, vcc, 0, v25, vcc
	v_cmp_ne_u32_e32 vcc, 0, v48
                                        ; implicit-def: $vgpr33
	s_and_saveexec_b64 s[16:17], vcc
	s_xor_b64 s[16:17], exec, s[16:17]
; %bb.773:                              ;   in Loop: Header=BB4_639 Depth=2
	v_add_u32_e32 v22, 7, v49
	v_cmp_lt_u64_e32 vcc, s[40:41], v[24:25]
	v_cndmask_b32_e32 v33, v48, v22, vcc
	v_cndmask_b32_e64 v22, 0, 1, vcc
	v_lshrrev_b64 v[24:25], v22, v[24:25]
; %bb.774:                              ;   in Loop: Header=BB4_639 Depth=2
	s_andn2_saveexec_b64 s[16:17], s[16:17]
; %bb.775:                              ;   in Loop: Header=BB4_639 Depth=2
	v_bfe_u32 v33, v24, 23, 1
; %bb.776:                              ;   in Loop: Header=BB4_639 Depth=2
	s_or_b64 exec, exec, s[16:17]
	v_lshrrev_b64 v[22:23], 20, v[24:25]
	v_cmp_gt_i32_e32 vcc, 16, v33
	v_cndmask_b32_e32 v23, 0, v23, vcc
	v_cndmask_b32_e32 v22, 7, v22, vcc
	v_cmp_eq_u64_e64 s[16:17], 0, v[22:23]
	v_min_i32_e32 v23, 15, v33
	v_lshlrev_b32_e32 v23, 3, v23
	v_cmp_eq_u32_e32 vcc, 0, v33
	v_and_b32_e32 v23, 0xf8, v23
	v_and_or_b32 v22, v22, 7, v23
	s_and_b64 s[16:17], vcc, s[16:17]
	v_cndmask_b32_e64 v22, v22, 0, s[16:17]
	v_or_b32_e32 v33, v22, v11
.LBB4_777:                              ;   in Loop: Header=BB4_639 Depth=2
	s_or_b64 exec, exec, s[48:49]
.LBB4_778:                              ;   in Loop: Header=BB4_639 Depth=2
	s_or_b64 exec, exec, s[46:47]
                                        ; implicit-def: $vgpr48
                                        ; implicit-def: $vgpr24_vgpr25
.LBB4_779:                              ;   in Loop: Header=BB4_639 Depth=2
	s_andn2_saveexec_b64 s[16:17], s[44:45]
; %bb.780:                              ;   in Loop: Header=BB4_639 Depth=2
	v_or_b32_sdwa v11, v48, s62 dst_sel:DWORD dst_unused:UNUSED_PAD src0_sel:BYTE_3 src1_sel:DWORD
	v_cmp_eq_u64_e32 vcc, 0, v[24:25]
	v_cndmask_b32_e32 v33, v11, v33, vcc
; %bb.781:                              ;   in Loop: Header=BB4_639 Depth=2
	s_or_b64 exec, exec, s[16:17]
	v_cmp_lt_u32_e32 vcc, s64, v42
	v_mov_b32_e32 v11, 0
	s_and_saveexec_b64 s[16:17], vcc
	s_cbranch_execz .LBB4_787
; %bb.782:                              ;   in Loop: Header=BB4_639 Depth=2
	v_lshrrev_b32_e32 v24, 24, v42
	v_cmp_ne_u32_sdwa vcc, v42, s61 src0_sel:BYTE_3 src1_sel:DWORD
	v_bfrev_b32_e32 v11, 1
	s_and_saveexec_b64 s[44:45], vcc
	s_cbranch_execz .LBB4_786
; %bb.783:                              ;   in Loop: Header=BB4_639 Depth=2
	v_bfe_u32 v22, v42, 24, 7
	v_cmp_ne_u32_e32 vcc, s62, v22
	v_mov_b32_e32 v11, 0x7f800001
	s_and_saveexec_b64 s[46:47], vcc
	s_cbranch_execz .LBB4_785
; %bb.784:                              ;   in Loop: Header=BB4_639 Depth=2
	v_and_b32_e32 v11, 7, v24
	v_ffbh_u32_e32 v25, v11
	v_min_u32_e32 v36, 32, v25
	v_subrev_u32_e32 v25, 28, v36
	v_lshlrev_b64 v[24:25], v25, v[24:25]
	v_lshrrev_b32_e32 v23, 3, v22
	v_sub_u32_e32 v25, 29, v36
	v_and_b32_e32 v24, 7, v24
	v_cmp_gt_u32_e32 vcc, 8, v22
	v_cndmask_b32_e32 v22, v23, v25, vcc
	v_cndmask_b32_e32 v11, v11, v24, vcc
	v_lshlrev_b32_sdwa v23, v7, v42 dst_sel:DWORD dst_unused:UNUSED_PAD src0_sel:DWORD src1_sel:BYTE_3
	v_lshlrev_b32_e32 v11, 20, v11
	v_and_b32_e32 v23, 0x80000000, v23
	v_lshl_add_u32 v22, v22, 23, v47
	v_or3_b32 v11, v23, v22, v11
.LBB4_785:                              ;   in Loop: Header=BB4_639 Depth=2
	s_or_b64 exec, exec, s[46:47]
.LBB4_786:                              ;   in Loop: Header=BB4_639 Depth=2
	s_or_b64 exec, exec, s[44:45]
.LBB4_787:                              ;   in Loop: Header=BB4_639 Depth=2
	s_or_b64 exec, exec, s[16:17]
	v_mul_f32_e32 v24, v62, v11
	v_and_b32_sdwa v11, v24, s61 dst_sel:DWORD dst_unused:UNUSED_PAD src0_sel:BYTE_3 src1_sel:DWORD
	v_and_b32_e32 v22, 0x7f800000, v24
	v_mov_b32_e32 v23, v43
	v_and_b32_e32 v42, 0x7fffff, v24
	v_or_b32_e32 v48, 0x7e, v11
	v_cmp_ne_u64_e32 vcc, s[36:37], v[22:23]
	s_and_saveexec_b64 s[16:17], vcc
	s_xor_b64 s[44:45], exec, s[16:17]
	s_cbranch_execz .LBB4_797
; %bb.788:                              ;   in Loop: Header=BB4_639 Depth=2
	v_and_b32_e32 v22, 0x7fffffff, v24
	v_mov_b32_e32 v23, v43
	v_cmp_gt_u64_e32 vcc, s[38:39], v[22:23]
	s_and_saveexec_b64 s[46:47], vcc
	s_cbranch_execz .LBB4_796
; %bb.789:                              ;   in Loop: Header=BB4_639 Depth=2
	v_cmp_ne_u32_e32 vcc, 0, v24
	v_mov_b32_e32 v48, 0
	s_and_saveexec_b64 s[48:49], vcc
	s_cbranch_execz .LBB4_795
; %bb.790:                              ;   in Loop: Header=BB4_639 Depth=2
	v_bfe_u32 v22, v24, 23, 8
	v_sub_u32_e32 v24, 0x79, v22
	v_cmp_gt_u32_e32 vcc, s63, v22
	v_cndmask_b32_e32 v24, 0, v24, vcc
	v_cmp_eq_u32_e32 vcc, 0, v22
	v_or_b32_e32 v25, 0x800000, v42
	v_cndmask_b32_e32 v37, v24, v6, vcc
	v_add_u32_e32 v23, 0xffffff81, v22
	v_cndmask_b32_e32 v42, v25, v42, vcc
	v_add_u32_e32 v22, 20, v37
	v_cndmask_b32_e32 v36, v23, v30, vcc
	v_lshlrev_b64 v[22:23], v22, -1
	v_lshrrev_b64 v[60:61], v37, v[42:43]
	v_not_b32_e32 v23, v23
	v_not_b32_e32 v22, v22
	v_add_u32_e32 v24, 19, v37
	v_lshrrev_b32_e32 v48, 23, v60
	v_and_b32_e32 v23, 0, v23
	v_and_b32_e32 v22, v42, v22
	v_lshlrev_b64 v[24:25], v24, 1
	v_add3_u32 v42, v37, v36, v48
	v_bfe_u32 v36, v60, 20, 1
	v_add_u32_e32 v36, -1, v36
	v_cmp_eq_u64_e32 vcc, v[22:23], v[24:25]
	v_cndmask_b32_e32 v22, 0, v36, vcc
	v_add_u32_e32 v22, v22, v60
	v_and_b32_e32 v22, 0xfffff, v22
	v_add_co_u32_e32 v24, vcc, v22, v60
	v_add_u32_e32 v49, 6, v42
	v_addc_co_u32_e32 v25, vcc, 0, v61, vcc
	v_cmp_ne_u32_e32 vcc, 0, v49
                                        ; implicit-def: $vgpr48
	s_and_saveexec_b64 s[16:17], vcc
	s_xor_b64 s[16:17], exec, s[16:17]
; %bb.791:                              ;   in Loop: Header=BB4_639 Depth=2
	v_add_u32_e32 v22, 7, v42
	v_cmp_lt_u64_e32 vcc, s[40:41], v[24:25]
	v_cndmask_b32_e32 v48, v49, v22, vcc
	v_cndmask_b32_e64 v22, 0, 1, vcc
	v_lshrrev_b64 v[24:25], v22, v[24:25]
; %bb.792:                              ;   in Loop: Header=BB4_639 Depth=2
	s_andn2_saveexec_b64 s[16:17], s[16:17]
; %bb.793:                              ;   in Loop: Header=BB4_639 Depth=2
	v_bfe_u32 v48, v24, 23, 1
; %bb.794:                              ;   in Loop: Header=BB4_639 Depth=2
	s_or_b64 exec, exec, s[16:17]
	v_lshrrev_b64 v[22:23], 20, v[24:25]
	v_cmp_gt_i32_e32 vcc, 16, v48
	v_cndmask_b32_e32 v23, 0, v23, vcc
	v_cndmask_b32_e32 v22, 7, v22, vcc
	v_cmp_eq_u64_e64 s[16:17], 0, v[22:23]
	v_min_i32_e32 v23, 15, v48
	v_lshlrev_b32_e32 v23, 3, v23
	v_cmp_eq_u32_e32 vcc, 0, v48
	v_and_b32_e32 v23, 0xf8, v23
	v_and_or_b32 v22, v22, 7, v23
	s_and_b64 s[16:17], vcc, s[16:17]
	v_cndmask_b32_e64 v22, v22, 0, s[16:17]
	v_or_b32_e32 v48, v22, v11
.LBB4_795:                              ;   in Loop: Header=BB4_639 Depth=2
	s_or_b64 exec, exec, s[48:49]
.LBB4_796:                              ;   in Loop: Header=BB4_639 Depth=2
	s_or_b64 exec, exec, s[46:47]
                                        ; implicit-def: $vgpr24
.LBB4_797:                              ;   in Loop: Header=BB4_639 Depth=2
	s_andn2_saveexec_b64 s[16:17], s[44:45]
; %bb.798:                              ;   in Loop: Header=BB4_639 Depth=2
	v_or_b32_sdwa v11, v24, s62 dst_sel:DWORD dst_unused:UNUSED_PAD src0_sel:BYTE_3 src1_sel:DWORD
	v_cmp_eq_u64_e32 vcc, 0, v[42:43]
	v_cndmask_b32_e32 v48, v11, v48, vcc
; %bb.799:                              ;   in Loop: Header=BB4_639 Depth=2
	s_or_b64 exec, exec, s[16:17]
	s_waitcnt vmcnt(0)
	v_cmp_ne_u16_sdwa vcc, v2, v43 src0_sel:BYTE_0 src1_sel:DWORD
	v_mov_b32_e32 v24, 0
	v_mov_b32_e32 v11, 0
	s_and_saveexec_b64 s[16:17], vcc
	s_cbranch_execz .LBB4_805
; %bb.800:                              ;   in Loop: Header=BB4_639 Depth=2
	v_cmp_ne_u16_sdwa vcc, v2, s61 src0_sel:BYTE_0 src1_sel:DWORD
	v_bfrev_b32_e32 v11, 1
	s_and_saveexec_b64 s[44:45], vcc
	s_cbranch_execz .LBB4_804
; %bb.801:                              ;   in Loop: Header=BB4_639 Depth=2
	v_and_b32_e32 v22, 0x7f, v2
	v_cmp_ne_u32_e32 vcc, s62, v22
	v_mov_b32_e32 v11, 0x7f800001
	s_and_saveexec_b64 s[46:47], vcc
	s_cbranch_execz .LBB4_803
; %bb.802:                              ;   in Loop: Header=BB4_639 Depth=2
	v_and_b32_e32 v11, 7, v2
	v_ffbh_u32_e32 v11, v11
	v_min_u32_e32 v11, 32, v11
	v_subrev_u32_e32 v25, 28, v11
	v_cmp_gt_u32_e32 vcc, 8, v22
	v_lshrrev_b32_e32 v23, 3, v22
	v_sub_u32_e32 v11, 29, v11
	v_cndmask_b32_e32 v22, 0, v25, vcc
	v_cndmask_b32_e32 v11, v23, v11, vcc
	v_lshlrev_b64 v[22:23], v22, v[2:3]
	v_lshlrev_b32_e32 v3, 20, v22
	v_lshlrev_b32_e32 v22, 24, v2
	v_and_b32_e32 v3, 0x700000, v3
	v_and_b32_e32 v22, 0x80000000, v22
	v_lshl_add_u32 v11, v11, 23, v47
	v_or3_b32 v11, v22, v11, v3
.LBB4_803:                              ;   in Loop: Header=BB4_639 Depth=2
	s_or_b64 exec, exec, s[46:47]
.LBB4_804:                              ;   in Loop: Header=BB4_639 Depth=2
	s_or_b64 exec, exec, s[44:45]
.LBB4_805:                              ;   in Loop: Header=BB4_639 Depth=2
	s_or_b64 exec, exec, s[16:17]
	v_lshlrev_b32_e32 v3, 8, v31
	v_cmp_ne_u16_sdwa vcc, v8, v43 src0_sel:BYTE_0 src1_sel:DWORD
	s_and_saveexec_b64 s[16:17], vcc
	s_cbranch_execz .LBB4_811
; %bb.806:                              ;   in Loop: Header=BB4_639 Depth=2
	v_cmp_ne_u16_sdwa vcc, v8, s61 src0_sel:BYTE_0 src1_sel:DWORD
	v_bfrev_b32_e32 v24, 1
	s_and_saveexec_b64 s[44:45], vcc
	s_cbranch_execz .LBB4_810
; %bb.807:                              ;   in Loop: Header=BB4_639 Depth=2
	v_and_b32_e32 v22, 0x7f, v8
	v_cmp_ne_u32_e32 vcc, s62, v22
	v_mov_b32_e32 v24, 0x7f800001
	s_and_saveexec_b64 s[46:47], vcc
	s_cbranch_execz .LBB4_809
; %bb.808:                              ;   in Loop: Header=BB4_639 Depth=2
	v_and_b32_e32 v23, 7, v8
	v_ffbh_u32_e32 v23, v23
	v_min_u32_e32 v23, 32, v23
	v_lshrrev_b32_e32 v25, 3, v22
	v_subrev_u32_e32 v31, 28, v23
	v_sub_u32_e32 v23, 29, v23
	v_cmp_gt_u32_e32 vcc, 8, v22
	v_perm_b32 v24, v3, v8, s65
	v_cndmask_b32_e32 v25, v25, v23, vcc
	v_cndmask_b32_e32 v22, 0, v31, vcc
	v_lshlrev_b64 v[22:23], v22, v[24:25]
	v_lshlrev_b32_e32 v22, 20, v22
	v_lshlrev_b32_e32 v8, 24, v8
	v_and_b32_e32 v22, 0x700000, v22
	v_and_b32_e32 v8, 0x80000000, v8
	v_lshl_add_u32 v23, v25, 23, v47
	v_or3_b32 v24, v8, v23, v22
.LBB4_809:                              ;   in Loop: Header=BB4_639 Depth=2
	s_or_b64 exec, exec, s[46:47]
.LBB4_810:                              ;   in Loop: Header=BB4_639 Depth=2
	s_or_b64 exec, exec, s[44:45]
.LBB4_811:                              ;   in Loop: Header=BB4_639 Depth=2
	s_or_b64 exec, exec, s[16:17]
	v_add_f32_e32 v24, v11, v24
	v_and_b32_sdwa v11, v24, s61 dst_sel:DWORD dst_unused:UNUSED_PAD src0_sel:BYTE_3 src1_sel:DWORD
	v_and_b32_e32 v22, 0x7f800000, v24
	v_mov_b32_e32 v23, v43
	v_and_b32_e32 v42, 0x7fffff, v24
	v_or_b32_e32 v8, 0x7e, v11
	v_cmp_ne_u64_e32 vcc, s[36:37], v[22:23]
	s_and_saveexec_b64 s[16:17], vcc
	s_xor_b64 s[44:45], exec, s[16:17]
	s_cbranch_execz .LBB4_821
; %bb.812:                              ;   in Loop: Header=BB4_639 Depth=2
	v_and_b32_e32 v22, 0x7fffffff, v24
	v_mov_b32_e32 v23, v43
	v_cmp_gt_u64_e32 vcc, s[38:39], v[22:23]
	s_and_saveexec_b64 s[46:47], vcc
	s_cbranch_execz .LBB4_820
; %bb.813:                              ;   in Loop: Header=BB4_639 Depth=2
	v_cmp_ne_u32_e32 vcc, 0, v24
	v_mov_b32_e32 v8, 0
	s_and_saveexec_b64 s[48:49], vcc
	s_cbranch_execz .LBB4_819
; %bb.814:                              ;   in Loop: Header=BB4_639 Depth=2
	v_bfe_u32 v8, v24, 23, 8
	v_sub_u32_e32 v23, 0x79, v8
	v_cmp_gt_u32_e32 vcc, s63, v8
	v_cndmask_b32_e32 v23, 0, v23, vcc
	v_cmp_eq_u32_e32 vcc, 0, v8
	v_add_u32_e32 v22, 0xffffff81, v8
	v_or_b32_e32 v24, 0x800000, v42
	v_cndmask_b32_e32 v31, v23, v6, vcc
	v_cndmask_b32_e32 v8, v22, v30, vcc
	v_cndmask_b32_e32 v42, v24, v42, vcc
	v_add_u32_e32 v22, 20, v31
	v_lshlrev_b64 v[22:23], v22, -1
	v_lshrrev_b64 v[60:61], v31, v[42:43]
	v_not_b32_e32 v23, v23
	v_not_b32_e32 v22, v22
	v_add_u32_e32 v24, 19, v31
	v_lshrrev_b32_e32 v36, 23, v60
	v_and_b32_e32 v23, 0, v23
	v_and_b32_e32 v22, v42, v22
	v_lshlrev_b64 v[24:25], v24, 1
	v_add3_u32 v49, v31, v8, v36
	v_bfe_u32 v8, v60, 20, 1
	v_add_u32_e32 v8, -1, v8
	v_cmp_eq_u64_e32 vcc, v[22:23], v[24:25]
	v_cndmask_b32_e32 v8, 0, v8, vcc
	v_add_u32_e32 v8, v8, v60
	v_and_b32_e32 v8, 0xfffff, v8
	v_add_co_u32_e32 v24, vcc, v8, v60
	v_add_u32_e32 v31, 6, v49
	v_addc_co_u32_e32 v25, vcc, 0, v61, vcc
	v_cmp_ne_u32_e32 vcc, 0, v31
                                        ; implicit-def: $vgpr8
	s_and_saveexec_b64 s[16:17], vcc
	s_xor_b64 s[16:17], exec, s[16:17]
; %bb.815:                              ;   in Loop: Header=BB4_639 Depth=2
	v_cmp_lt_u64_e32 vcc, s[40:41], v[24:25]
	v_add_u32_e32 v8, 7, v49
	v_cndmask_b32_e64 v22, 0, 1, vcc
	v_cndmask_b32_e32 v8, v31, v8, vcc
	v_lshrrev_b64 v[24:25], v22, v[24:25]
; %bb.816:                              ;   in Loop: Header=BB4_639 Depth=2
	s_andn2_saveexec_b64 s[16:17], s[16:17]
; %bb.817:                              ;   in Loop: Header=BB4_639 Depth=2
	v_bfe_u32 v8, v24, 23, 1
; %bb.818:                              ;   in Loop: Header=BB4_639 Depth=2
	s_or_b64 exec, exec, s[16:17]
	v_lshrrev_b64 v[22:23], 20, v[24:25]
	v_cmp_gt_i32_e32 vcc, 16, v8
	v_cndmask_b32_e32 v23, 0, v23, vcc
	v_cndmask_b32_e32 v22, 7, v22, vcc
	v_cmp_eq_u32_e32 vcc, 0, v8
	v_min_i32_e32 v8, 15, v8
	v_cmp_eq_u64_e64 s[16:17], 0, v[22:23]
	v_lshlrev_b32_e32 v8, 3, v8
	v_and_or_b32 v8, v22, 7, v8
	s_and_b64 s[16:17], vcc, s[16:17]
	v_cndmask_b32_e64 v8, v8, 0, s[16:17]
	v_or_b32_e32 v8, v8, v11
.LBB4_819:                              ;   in Loop: Header=BB4_639 Depth=2
	s_or_b64 exec, exec, s[48:49]
.LBB4_820:                              ;   in Loop: Header=BB4_639 Depth=2
	s_or_b64 exec, exec, s[46:47]
                                        ; implicit-def: $vgpr24
.LBB4_821:                              ;   in Loop: Header=BB4_639 Depth=2
	s_andn2_saveexec_b64 s[16:17], s[44:45]
; %bb.822:                              ;   in Loop: Header=BB4_639 Depth=2
	v_or_b32_sdwa v11, v24, s62 dst_sel:DWORD dst_unused:UNUSED_PAD src0_sel:BYTE_3 src1_sel:DWORD
	v_cmp_eq_u64_e32 vcc, 0, v[42:43]
	v_cndmask_b32_e32 v8, v11, v8, vcc
; %bb.823:                              ;   in Loop: Header=BB4_639 Depth=2
	s_or_b64 exec, exec, s[16:17]
	v_lshrrev_b16_e32 v24, 8, v2
	v_cmp_ne_u16_e32 vcc, 0, v24
	v_mov_b32_e32 v11, 0
	v_mov_b32_e32 v25, 0
	s_and_saveexec_b64 s[16:17], vcc
	s_cbranch_execz .LBB4_829
; %bb.824:                              ;   in Loop: Header=BB4_639 Depth=2
	v_cmp_ne_u16_e32 vcc, s61, v24
	v_bfrev_b32_e32 v25, 1
	s_and_saveexec_b64 s[44:45], vcc
	s_cbranch_execz .LBB4_828
; %bb.825:                              ;   in Loop: Header=BB4_639 Depth=2
	v_and_b32_e32 v22, 0x7f, v24
	v_cmp_ne_u32_e32 vcc, s62, v22
	v_mov_b32_e32 v25, 0x7f800001
	s_and_saveexec_b64 s[46:47], vcc
	s_cbranch_execz .LBB4_827
; %bb.826:                              ;   in Loop: Header=BB4_639 Depth=2
	v_and_b32_e32 v23, 7, v24
	v_ffbh_u32_e32 v25, v23
	v_min_u32_e32 v36, 32, v25
	v_subrev_u32_e32 v25, 28, v36
	v_lshlrev_b64 v[24:25], v25, v[24:25]
	v_lshrrev_b32_e32 v31, 3, v22
	v_sub_u32_e32 v25, 29, v36
	v_and_b32_e32 v24, 7, v24
	v_cmp_gt_u32_e32 vcc, 8, v22
	v_cndmask_b32_e32 v22, v31, v25, vcc
	v_cndmask_b32_e32 v23, v23, v24, vcc
	v_lshlrev_b32_e32 v24, 16, v2
	v_lshlrev_b32_e32 v23, 20, v23
	v_and_b32_e32 v24, 0x80000000, v24
	v_lshl_add_u32 v22, v22, 23, v47
	v_or3_b32 v25, v24, v22, v23
.LBB4_827:                              ;   in Loop: Header=BB4_639 Depth=2
	s_or_b64 exec, exec, s[46:47]
.LBB4_828:                              ;   in Loop: Header=BB4_639 Depth=2
	s_or_b64 exec, exec, s[44:45]
.LBB4_829:                              ;   in Loop: Header=BB4_639 Depth=2
	s_or_b64 exec, exec, s[16:17]
	v_lshrrev_b16_e32 v24, 8, v3
	v_cmp_ne_u16_e32 vcc, 0, v24
	s_and_saveexec_b64 s[16:17], vcc
	s_cbranch_execz .LBB4_835
; %bb.830:                              ;   in Loop: Header=BB4_639 Depth=2
	v_cmp_ne_u16_e32 vcc, s61, v24
	v_bfrev_b32_e32 v11, 1
	s_and_saveexec_b64 s[44:45], vcc
	s_cbranch_execz .LBB4_834
; %bb.831:                              ;   in Loop: Header=BB4_639 Depth=2
	v_and_b32_e32 v22, 0x7f, v24
	v_cmp_ne_u32_e32 vcc, s62, v22
	v_mov_b32_e32 v11, 0x7f800001
	s_and_saveexec_b64 s[46:47], vcc
	s_cbranch_execz .LBB4_833
; %bb.832:                              ;   in Loop: Header=BB4_639 Depth=2
	v_and_b32_e32 v11, 7, v24
	v_ffbh_u32_e32 v31, v11
	v_min_u32_e32 v31, 32, v31
	v_subrev_u32_e32 v36, 28, v31
	v_lshlrev_b64 v[60:61], v36, v[24:25]
	v_lshrrev_b32_e32 v23, 3, v22
	v_sub_u32_e32 v24, 29, v31
	v_and_b32_e32 v31, 7, v60
	v_cmp_gt_u32_e32 vcc, 8, v22
	v_cndmask_b32_e32 v22, v23, v24, vcc
	v_cndmask_b32_e32 v11, v11, v31, vcc
	v_lshlrev_b32_e32 v3, 16, v3
	v_lshlrev_b32_e32 v11, 20, v11
	v_and_b32_e32 v3, 0x80000000, v3
	v_lshl_add_u32 v22, v22, 23, v47
	v_or3_b32 v11, v3, v22, v11
.LBB4_833:                              ;   in Loop: Header=BB4_639 Depth=2
	s_or_b64 exec, exec, s[46:47]
.LBB4_834:                              ;   in Loop: Header=BB4_639 Depth=2
	s_or_b64 exec, exec, s[44:45]
.LBB4_835:                              ;   in Loop: Header=BB4_639 Depth=2
	s_or_b64 exec, exec, s[16:17]
	v_add_f32_e32 v11, v25, v11
	v_and_b32_sdwa v3, v11, s61 dst_sel:DWORD dst_unused:UNUSED_PAD src0_sel:BYTE_3 src1_sel:DWORD
	v_and_b32_e32 v22, 0x7f800000, v11
	v_mov_b32_e32 v23, v43
	v_and_b32_e32 v42, 0x7fffff, v11
	v_or_b32_e32 v25, 0x7e, v3
	v_cmp_ne_u64_e32 vcc, s[36:37], v[22:23]
	s_and_saveexec_b64 s[16:17], vcc
	s_xor_b64 s[44:45], exec, s[16:17]
	s_cbranch_execz .LBB4_845
; %bb.836:                              ;   in Loop: Header=BB4_639 Depth=2
	v_and_b32_e32 v22, 0x7fffffff, v11
	v_mov_b32_e32 v23, v43
	v_cmp_gt_u64_e32 vcc, s[38:39], v[22:23]
	s_and_saveexec_b64 s[46:47], vcc
	s_cbranch_execz .LBB4_844
; %bb.837:                              ;   in Loop: Header=BB4_639 Depth=2
	v_cmp_ne_u32_e32 vcc, 0, v11
	v_mov_b32_e32 v25, 0
	s_and_saveexec_b64 s[48:49], vcc
	s_cbranch_execz .LBB4_843
; %bb.838:                              ;   in Loop: Header=BB4_639 Depth=2
	v_bfe_u32 v11, v11, 23, 8
	v_sub_u32_e32 v23, 0x79, v11
	v_cmp_gt_u32_e32 vcc, s63, v11
	v_cndmask_b32_e32 v23, 0, v23, vcc
	v_cmp_eq_u32_e32 vcc, 0, v11
	v_add_u32_e32 v22, 0xffffff81, v11
	v_or_b32_e32 v24, 0x800000, v42
	v_cndmask_b32_e32 v31, v23, v6, vcc
	v_cndmask_b32_e32 v11, v22, v30, vcc
	;; [unrolled: 1-line block ×3, first 2 shown]
	v_add_u32_e32 v22, 20, v31
	v_lshlrev_b64 v[22:23], v22, -1
	v_lshrrev_b64 v[60:61], v31, v[42:43]
	v_not_b32_e32 v23, v23
	v_not_b32_e32 v22, v22
	v_add_u32_e32 v24, 19, v31
	v_lshrrev_b32_e32 v36, 23, v60
	v_and_b32_e32 v23, 0, v23
	v_and_b32_e32 v22, v42, v22
	v_lshlrev_b64 v[24:25], v24, 1
	v_add3_u32 v49, v31, v11, v36
	v_bfe_u32 v11, v60, 20, 1
	v_add_u32_e32 v11, -1, v11
	v_cmp_eq_u64_e32 vcc, v[22:23], v[24:25]
	v_cndmask_b32_e32 v11, 0, v11, vcc
	v_add_u32_e32 v11, v11, v60
	v_and_b32_e32 v11, 0xfffff, v11
	v_add_co_u32_e32 v24, vcc, v11, v60
	v_add_u32_e32 v31, 6, v49
	v_addc_co_u32_e32 v25, vcc, 0, v61, vcc
	v_cmp_ne_u32_e32 vcc, 0, v31
                                        ; implicit-def: $vgpr11
	s_and_saveexec_b64 s[16:17], vcc
	s_xor_b64 s[16:17], exec, s[16:17]
; %bb.839:                              ;   in Loop: Header=BB4_639 Depth=2
	v_cmp_lt_u64_e32 vcc, s[40:41], v[24:25]
	v_add_u32_e32 v11, 7, v49
	v_cndmask_b32_e64 v22, 0, 1, vcc
	v_cndmask_b32_e32 v11, v31, v11, vcc
	v_lshrrev_b64 v[24:25], v22, v[24:25]
; %bb.840:                              ;   in Loop: Header=BB4_639 Depth=2
	s_andn2_saveexec_b64 s[16:17], s[16:17]
; %bb.841:                              ;   in Loop: Header=BB4_639 Depth=2
	v_bfe_u32 v11, v24, 23, 1
; %bb.842:                              ;   in Loop: Header=BB4_639 Depth=2
	s_or_b64 exec, exec, s[16:17]
	v_lshrrev_b64 v[22:23], 20, v[24:25]
	v_cmp_gt_i32_e32 vcc, 16, v11
	v_cndmask_b32_e32 v23, 0, v23, vcc
	v_cndmask_b32_e32 v22, 7, v22, vcc
	v_cmp_eq_u32_e32 vcc, 0, v11
	v_min_i32_e32 v11, 15, v11
	v_cmp_eq_u64_e64 s[16:17], 0, v[22:23]
	v_lshlrev_b32_e32 v11, 3, v11
	v_and_or_b32 v11, v22, 7, v11
	s_and_b64 s[16:17], vcc, s[16:17]
	v_cndmask_b32_e64 v11, v11, 0, s[16:17]
	v_or_b32_e32 v25, v11, v3
.LBB4_843:                              ;   in Loop: Header=BB4_639 Depth=2
	s_or_b64 exec, exec, s[48:49]
.LBB4_844:                              ;   in Loop: Header=BB4_639 Depth=2
	s_or_b64 exec, exec, s[46:47]
                                        ; implicit-def: $vgpr11
.LBB4_845:                              ;   in Loop: Header=BB4_639 Depth=2
	s_andn2_saveexec_b64 s[16:17], s[44:45]
; %bb.846:                              ;   in Loop: Header=BB4_639 Depth=2
	v_or_b32_sdwa v3, v11, s62 dst_sel:DWORD dst_unused:UNUSED_PAD src0_sel:BYTE_3 src1_sel:DWORD
	v_cmp_eq_u64_e32 vcc, 0, v[42:43]
	v_cndmask_b32_e32 v25, v3, v25, vcc
; %bb.847:                              ;   in Loop: Header=BB4_639 Depth=2
	s_or_b64 exec, exec, s[16:17]
	v_lshrrev_b32_e32 v24, 16, v2
	v_cmp_ne_u16_sdwa vcc, v24, v43 src0_sel:BYTE_0 src1_sel:DWORD
	v_mov_b32_e32 v3, 0
	v_mov_b32_e32 v11, 0
	s_and_saveexec_b64 s[16:17], vcc
	s_cbranch_execz .LBB4_853
; %bb.848:                              ;   in Loop: Header=BB4_639 Depth=2
	v_cmp_ne_u16_sdwa vcc, v24, s61 src0_sel:BYTE_0 src1_sel:DWORD
	v_bfrev_b32_e32 v11, 1
	s_and_saveexec_b64 s[44:45], vcc
	s_cbranch_execz .LBB4_852
; %bb.849:                              ;   in Loop: Header=BB4_639 Depth=2
	v_bfe_u32 v22, v2, 16, 7
	v_cmp_ne_u32_e32 vcc, s62, v22
	v_mov_b32_e32 v11, 0x7f800001
	s_and_saveexec_b64 s[46:47], vcc
	s_cbranch_execz .LBB4_851
; %bb.850:                              ;   in Loop: Header=BB4_639 Depth=2
	v_and_b32_e32 v11, 7, v24
	v_ffbh_u32_e32 v31, v11
	v_min_u32_e32 v31, 32, v31
	v_subrev_u32_e32 v36, 28, v31
	v_lshlrev_b64 v[60:61], v36, v[24:25]
	v_lshrrev_b32_e32 v23, 3, v22
	v_sub_u32_e32 v31, 29, v31
	v_and_b32_e32 v36, 7, v60
	v_cmp_gt_u32_e32 vcc, 8, v22
	v_cndmask_b32_e32 v22, v23, v31, vcc
	v_cndmask_b32_e32 v11, v11, v36, vcc
	v_lshlrev_b32_e32 v23, 24, v24
	v_lshlrev_b32_e32 v11, 20, v11
	v_and_b32_e32 v23, 0x80000000, v23
	v_lshl_add_u32 v22, v22, 23, v47
	v_or3_b32 v11, v23, v22, v11
.LBB4_851:                              ;   in Loop: Header=BB4_639 Depth=2
	s_or_b64 exec, exec, s[46:47]
.LBB4_852:                              ;   in Loop: Header=BB4_639 Depth=2
	s_or_b64 exec, exec, s[44:45]
.LBB4_853:                              ;   in Loop: Header=BB4_639 Depth=2
	s_or_b64 exec, exec, s[16:17]
	v_cmp_ne_u16_sdwa vcc, v10, v43 src0_sel:BYTE_0 src1_sel:DWORD
	s_and_saveexec_b64 s[16:17], vcc
	s_cbranch_execz .LBB4_859
; %bb.854:                              ;   in Loop: Header=BB4_639 Depth=2
	v_cmp_ne_u16_sdwa vcc, v10, s61 src0_sel:BYTE_0 src1_sel:DWORD
	v_bfrev_b32_e32 v3, 1
	s_and_saveexec_b64 s[44:45], vcc
	s_cbranch_execz .LBB4_858
; %bb.855:                              ;   in Loop: Header=BB4_639 Depth=2
	v_and_b32_e32 v22, 0x7f, v10
	v_cmp_ne_u32_e32 vcc, s62, v22
	v_mov_b32_e32 v3, 0x7f800001
	s_and_saveexec_b64 s[46:47], vcc
	s_cbranch_execz .LBB4_857
; %bb.856:                              ;   in Loop: Header=BB4_639 Depth=2
	v_and_b32_e32 v3, 7, v10
	v_ffbh_u32_e32 v24, v3
	v_min_u32_e32 v24, 32, v24
	v_subrev_u32_e32 v31, 28, v24
	v_lshlrev_b64 v[60:61], v31, v[10:11]
	v_lshrrev_b32_e32 v23, 3, v22
	v_sub_u32_e32 v24, 29, v24
	v_and_b32_e32 v31, 7, v60
	v_cmp_gt_u32_e32 vcc, 8, v22
	v_cndmask_b32_e32 v22, v23, v24, vcc
	v_cndmask_b32_e32 v3, v3, v31, vcc
	v_lshlrev_b32_e32 v10, 24, v10
	v_lshlrev_b32_e32 v3, 20, v3
	v_and_b32_e32 v10, 0x80000000, v10
	v_lshl_add_u32 v22, v22, 23, v47
	v_or3_b32 v3, v10, v22, v3
.LBB4_857:                              ;   in Loop: Header=BB4_639 Depth=2
	s_or_b64 exec, exec, s[46:47]
.LBB4_858:                              ;   in Loop: Header=BB4_639 Depth=2
	s_or_b64 exec, exec, s[44:45]
.LBB4_859:                              ;   in Loop: Header=BB4_639 Depth=2
	s_or_b64 exec, exec, s[16:17]
	v_add_f32_e32 v10, v11, v3
	v_and_b32_sdwa v3, v10, s61 dst_sel:DWORD dst_unused:UNUSED_PAD src0_sel:BYTE_3 src1_sel:DWORD
	v_and_b32_e32 v22, 0x7f800000, v10
	v_mov_b32_e32 v23, v43
	v_and_b32_e32 v42, 0x7fffff, v10
	v_or_b32_e32 v11, 0x7e, v3
	v_cmp_ne_u64_e32 vcc, s[36:37], v[22:23]
	s_and_saveexec_b64 s[16:17], vcc
	s_xor_b64 s[44:45], exec, s[16:17]
	s_cbranch_execz .LBB4_869
; %bb.860:                              ;   in Loop: Header=BB4_639 Depth=2
	v_and_b32_e32 v22, 0x7fffffff, v10
	v_mov_b32_e32 v23, v43
	v_cmp_gt_u64_e32 vcc, s[38:39], v[22:23]
	s_and_saveexec_b64 s[46:47], vcc
	s_cbranch_execz .LBB4_868
; %bb.861:                              ;   in Loop: Header=BB4_639 Depth=2
	v_cmp_ne_u32_e32 vcc, 0, v10
	v_mov_b32_e32 v11, 0
	s_and_saveexec_b64 s[48:49], vcc
	s_cbranch_execz .LBB4_867
; %bb.862:                              ;   in Loop: Header=BB4_639 Depth=2
	v_bfe_u32 v10, v10, 23, 8
	v_sub_u32_e32 v22, 0x79, v10
	v_cmp_gt_u32_e32 vcc, s63, v10
	v_cndmask_b32_e32 v22, 0, v22, vcc
	v_cmp_eq_u32_e32 vcc, 0, v10
	v_or_b32_e32 v23, 0x800000, v42
	v_cndmask_b32_e32 v31, v22, v6, vcc
	v_add_u32_e32 v11, 0xffffff81, v10
	v_cndmask_b32_e32 v42, v23, v42, vcc
	v_add_u32_e32 v10, 20, v31
	v_cndmask_b32_e32 v24, v11, v30, vcc
	v_lshlrev_b64 v[10:11], v10, -1
	v_lshrrev_b64 v[60:61], v31, v[42:43]
	v_not_b32_e32 v11, v11
	v_not_b32_e32 v10, v10
	v_add_u32_e32 v22, 19, v31
	v_lshrrev_b32_e32 v36, 23, v60
	v_and_b32_e32 v11, 0, v11
	v_and_b32_e32 v10, v42, v10
	v_lshlrev_b64 v[22:23], v22, 1
	v_add3_u32 v49, v31, v24, v36
	v_bfe_u32 v24, v60, 20, 1
	v_add_u32_e32 v24, -1, v24
	v_cmp_eq_u64_e32 vcc, v[10:11], v[22:23]
	v_cndmask_b32_e32 v10, 0, v24, vcc
	v_add_u32_e32 v10, v10, v60
	v_and_b32_e32 v10, 0xfffff, v10
	v_add_co_u32_e32 v10, vcc, v10, v60
	v_add_u32_e32 v31, 6, v49
	v_addc_co_u32_e32 v11, vcc, 0, v61, vcc
	v_cmp_ne_u32_e32 vcc, 0, v31
                                        ; implicit-def: $vgpr24
	s_and_saveexec_b64 s[16:17], vcc
	s_xor_b64 s[16:17], exec, s[16:17]
; %bb.863:                              ;   in Loop: Header=BB4_639 Depth=2
	v_add_u32_e32 v22, 7, v49
	v_cmp_lt_u64_e32 vcc, s[40:41], v[10:11]
	v_cndmask_b32_e32 v24, v31, v22, vcc
	v_cndmask_b32_e64 v22, 0, 1, vcc
	v_lshrrev_b64 v[10:11], v22, v[10:11]
; %bb.864:                              ;   in Loop: Header=BB4_639 Depth=2
	s_andn2_saveexec_b64 s[16:17], s[16:17]
; %bb.865:                              ;   in Loop: Header=BB4_639 Depth=2
	v_bfe_u32 v24, v10, 23, 1
; %bb.866:                              ;   in Loop: Header=BB4_639 Depth=2
	s_or_b64 exec, exec, s[16:17]
	v_lshrrev_b64 v[10:11], 20, v[10:11]
	v_cmp_gt_i32_e32 vcc, 16, v24
	v_cndmask_b32_e32 v11, 0, v11, vcc
	v_cndmask_b32_e32 v10, 7, v10, vcc
	v_cmp_eq_u64_e64 s[16:17], 0, v[10:11]
	v_min_i32_e32 v11, 15, v24
	v_cmp_eq_u32_e32 vcc, 0, v24
	v_lshlrev_b32_e32 v11, 3, v11
	v_and_or_b32 v10, v10, 7, v11
	s_and_b64 s[16:17], vcc, s[16:17]
	v_cndmask_b32_e64 v10, v10, 0, s[16:17]
	v_or_b32_e32 v11, v10, v3
.LBB4_867:                              ;   in Loop: Header=BB4_639 Depth=2
	s_or_b64 exec, exec, s[48:49]
.LBB4_868:                              ;   in Loop: Header=BB4_639 Depth=2
	s_or_b64 exec, exec, s[46:47]
                                        ; implicit-def: $vgpr10
.LBB4_869:                              ;   in Loop: Header=BB4_639 Depth=2
	s_andn2_saveexec_b64 s[16:17], s[44:45]
; %bb.870:                              ;   in Loop: Header=BB4_639 Depth=2
	v_or_b32_sdwa v3, v10, s62 dst_sel:DWORD dst_unused:UNUSED_PAD src0_sel:BYTE_3 src1_sel:DWORD
	v_cmp_eq_u64_e32 vcc, 0, v[42:43]
	v_cndmask_b32_e32 v11, v3, v11, vcc
; %bb.871:                              ;   in Loop: Header=BB4_639 Depth=2
	s_or_b64 exec, exec, s[16:17]
	v_cmp_lt_u32_e32 vcc, s64, v2
	v_mov_b32_e32 v3, 0
	v_mov_b32_e32 v24, 0
	s_and_saveexec_b64 s[16:17], vcc
	s_cbranch_execz .LBB4_877
; %bb.872:                              ;   in Loop: Header=BB4_639 Depth=2
	v_lshrrev_b32_e32 v10, 24, v2
	v_cmp_ne_u32_e32 vcc, s61, v10
	v_bfrev_b32_e32 v24, 1
	s_and_saveexec_b64 s[44:45], vcc
	s_cbranch_execz .LBB4_876
; %bb.873:                              ;   in Loop: Header=BB4_639 Depth=2
	v_bfe_u32 v2, v2, 24, 7
	v_cmp_ne_u32_e32 vcc, s62, v2
	v_mov_b32_e32 v24, 0x7f800001
	s_and_saveexec_b64 s[46:47], vcc
	s_cbranch_execz .LBB4_875
; %bb.874:                              ;   in Loop: Header=BB4_639 Depth=2
	v_and_b32_e32 v24, 7, v10
	v_ffbh_u32_e32 v22, v24
	v_min_u32_e32 v36, 32, v22
	v_subrev_u32_e32 v22, 28, v36
	v_lshlrev_b64 v[22:23], v22, v[10:11]
	v_lshrrev_b32_e32 v31, 3, v2
	v_sub_u32_e32 v23, 29, v36
	v_and_b32_e32 v22, 7, v22
	v_cmp_gt_u32_e32 vcc, 8, v2
	v_cndmask_b32_e32 v2, v31, v23, vcc
	v_cndmask_b32_e32 v22, v24, v22, vcc
	v_lshlrev_b32_e32 v10, 24, v10
	v_lshlrev_b32_e32 v22, 20, v22
	v_and_b32_e32 v10, 0x80000000, v10
	v_lshl_add_u32 v2, v2, 23, v47
	v_or3_b32 v24, v10, v2, v22
.LBB4_875:                              ;   in Loop: Header=BB4_639 Depth=2
	s_or_b64 exec, exec, s[46:47]
.LBB4_876:                              ;   in Loop: Header=BB4_639 Depth=2
	s_or_b64 exec, exec, s[44:45]
.LBB4_877:                              ;   in Loop: Header=BB4_639 Depth=2
	s_or_b64 exec, exec, s[16:17]
	v_lshlrev_b32_e32 v2, 8, v21
	v_and_b32_e32 v2, 0xff00, v2
	v_cmp_ne_u32_e32 vcc, 0, v2
	s_and_saveexec_b64 s[16:17], vcc
	s_cbranch_execz .LBB4_883
; %bb.878:                              ;   in Loop: Header=BB4_639 Depth=2
	v_cmp_ne_u32_e32 vcc, s68, v2
	v_bfrev_b32_e32 v3, 1
	s_and_saveexec_b64 s[44:45], vcc
	s_cbranch_execz .LBB4_882
; %bb.879:                              ;   in Loop: Header=BB4_639 Depth=2
	v_bfe_u32 v10, v2, 8, 7
	v_cmp_ne_u32_e32 vcc, s62, v10
	v_mov_b32_e32 v3, 0x7f800001
	s_and_saveexec_b64 s[46:47], vcc
	s_cbranch_execz .LBB4_881
; %bb.880:                              ;   in Loop: Header=BB4_639 Depth=2
	v_lshrrev_b32_e32 v22, 8, v2
	v_and_b32_e32 v3, 7, v22
	v_ffbh_u32_e32 v23, v3
	v_min_u32_e32 v31, 32, v23
	v_subrev_u32_e32 v23, 28, v31
	v_lshlrev_b64 v[22:23], v23, v[22:23]
	v_lshrrev_b32_e32 v21, 3, v10
	v_sub_u32_e32 v23, 29, v31
	v_and_b32_e32 v22, 7, v22
	v_cmp_gt_u32_e32 vcc, 8, v10
	v_cndmask_b32_e32 v10, v21, v23, vcc
	v_cndmask_b32_e32 v3, v3, v22, vcc
	v_lshlrev_b32_e32 v2, 16, v2
	v_lshlrev_b32_e32 v3, 20, v3
	v_and_b32_e32 v2, 0x80000000, v2
	v_lshl_add_u32 v10, v10, 23, v47
	v_or3_b32 v3, v2, v10, v3
.LBB4_881:                              ;   in Loop: Header=BB4_639 Depth=2
	s_or_b64 exec, exec, s[46:47]
.LBB4_882:                              ;   in Loop: Header=BB4_639 Depth=2
	s_or_b64 exec, exec, s[44:45]
.LBB4_883:                              ;   in Loop: Header=BB4_639 Depth=2
	s_or_b64 exec, exec, s[16:17]
	v_add_f32_e32 v2, v24, v3
	v_and_b32_sdwa v21, v2, s61 dst_sel:DWORD dst_unused:UNUSED_PAD src0_sel:BYTE_3 src1_sel:DWORD
	v_and_b32_e32 v22, 0x7f800000, v2
	v_mov_b32_e32 v23, v43
	v_and_b32_e32 v42, 0x7fffff, v2
	v_or_b32_e32 v10, 0x7e, v21
	v_cmp_ne_u64_e32 vcc, s[36:37], v[22:23]
	s_and_saveexec_b64 s[16:17], vcc
	s_xor_b64 s[44:45], exec, s[16:17]
	s_cbranch_execz .LBB4_893
; %bb.884:                              ;   in Loop: Header=BB4_639 Depth=2
	v_and_b32_e32 v22, 0x7fffffff, v2
	v_mov_b32_e32 v23, v43
	v_cmp_gt_u64_e32 vcc, s[38:39], v[22:23]
	s_and_saveexec_b64 s[46:47], vcc
	s_cbranch_execz .LBB4_892
; %bb.885:                              ;   in Loop: Header=BB4_639 Depth=2
	v_cmp_ne_u32_e32 vcc, 0, v2
	v_mov_b32_e32 v10, 0
	s_and_saveexec_b64 s[48:49], vcc
	s_cbranch_execz .LBB4_891
; %bb.886:                              ;   in Loop: Header=BB4_639 Depth=2
	v_bfe_u32 v2, v2, 23, 8
	v_sub_u32_e32 v10, 0x79, v2
	v_cmp_gt_u32_e32 vcc, s63, v2
	v_cndmask_b32_e32 v10, 0, v10, vcc
	v_cmp_eq_u32_e32 vcc, 0, v2
	v_or_b32_e32 v22, 0x800000, v42
	v_cndmask_b32_e32 v10, v10, v6, vcc
	v_add_u32_e32 v3, 0xffffff81, v2
	v_cndmask_b32_e32 v42, v22, v42, vcc
	v_add_u32_e32 v2, 20, v10
	v_cndmask_b32_e32 v24, v3, v30, vcc
	v_lshlrev_b64 v[2:3], v2, -1
	v_lshrrev_b64 v[60:61], v10, v[42:43]
	v_not_b32_e32 v3, v3
	v_not_b32_e32 v2, v2
	v_add_u32_e32 v22, 19, v10
	v_lshrrev_b32_e32 v31, 23, v60
	v_and_b32_e32 v3, 0, v3
	v_and_b32_e32 v2, v42, v2
	v_lshlrev_b64 v[22:23], v22, 1
	v_add3_u32 v31, v10, v24, v31
	v_bfe_u32 v10, v60, 20, 1
	v_add_u32_e32 v10, -1, v10
	v_cmp_eq_u64_e32 vcc, v[2:3], v[22:23]
	v_cndmask_b32_e32 v2, 0, v10, vcc
	v_add_u32_e32 v2, v2, v60
	v_and_b32_e32 v2, 0xfffff, v2
	v_add_co_u32_e32 v2, vcc, v2, v60
	v_add_u32_e32 v24, 6, v31
	v_addc_co_u32_e32 v3, vcc, 0, v61, vcc
	v_cmp_ne_u32_e32 vcc, 0, v24
                                        ; implicit-def: $vgpr10
	s_and_saveexec_b64 s[16:17], vcc
	s_xor_b64 s[16:17], exec, s[16:17]
; %bb.887:                              ;   in Loop: Header=BB4_639 Depth=2
	v_cmp_lt_u64_e32 vcc, s[40:41], v[2:3]
	v_add_u32_e32 v10, 7, v31
	v_cndmask_b32_e64 v22, 0, 1, vcc
	v_cndmask_b32_e32 v10, v24, v10, vcc
	v_lshrrev_b64 v[2:3], v22, v[2:3]
; %bb.888:                              ;   in Loop: Header=BB4_639 Depth=2
	s_andn2_saveexec_b64 s[16:17], s[16:17]
; %bb.889:                              ;   in Loop: Header=BB4_639 Depth=2
	v_bfe_u32 v10, v2, 23, 1
; %bb.890:                              ;   in Loop: Header=BB4_639 Depth=2
	s_or_b64 exec, exec, s[16:17]
	v_lshrrev_b64 v[2:3], 20, v[2:3]
	v_cmp_gt_i32_e32 vcc, 16, v10
	v_cndmask_b32_e32 v3, 0, v3, vcc
	v_cndmask_b32_e32 v2, 7, v2, vcc
	v_cmp_eq_u64_e64 s[16:17], 0, v[2:3]
	v_min_i32_e32 v3, 15, v10
	v_cmp_eq_u32_e32 vcc, 0, v10
	v_lshlrev_b32_e32 v3, 3, v3
	v_and_or_b32 v2, v2, 7, v3
	s_and_b64 s[16:17], vcc, s[16:17]
	v_cndmask_b32_e64 v2, v2, 0, s[16:17]
	v_or_b32_e32 v10, v2, v21
.LBB4_891:                              ;   in Loop: Header=BB4_639 Depth=2
	s_or_b64 exec, exec, s[48:49]
.LBB4_892:                              ;   in Loop: Header=BB4_639 Depth=2
	s_or_b64 exec, exec, s[46:47]
                                        ; implicit-def: $vgpr2
.LBB4_893:                              ;   in Loop: Header=BB4_639 Depth=2
	s_andn2_saveexec_b64 s[16:17], s[44:45]
; %bb.894:                              ;   in Loop: Header=BB4_639 Depth=2
	v_or_b32_sdwa v2, v2, s62 dst_sel:DWORD dst_unused:UNUSED_PAD src0_sel:BYTE_3 src1_sel:DWORD
	v_cmp_eq_u64_e32 vcc, 0, v[42:43]
	v_cndmask_b32_e32 v10, v2, v10, vcc
; %bb.895:                              ;   in Loop: Header=BB4_639 Depth=2
	s_or_b64 exec, exec, s[16:17]
	v_cmp_ne_u16_sdwa vcc, v4, v43 src0_sel:BYTE_0 src1_sel:DWORD
	v_mov_b32_e32 v2, 0
	v_mov_b32_e32 v3, 0
	s_and_saveexec_b64 s[16:17], vcc
	s_cbranch_execz .LBB4_901
; %bb.896:                              ;   in Loop: Header=BB4_639 Depth=2
	v_cmp_ne_u16_sdwa vcc, v4, s61 src0_sel:BYTE_0 src1_sel:DWORD
	v_bfrev_b32_e32 v3, 1
	s_and_saveexec_b64 s[44:45], vcc
	s_cbranch_execz .LBB4_900
; %bb.897:                              ;   in Loop: Header=BB4_639 Depth=2
	v_and_b32_e32 v21, 0x7f, v4
	v_cmp_ne_u32_e32 vcc, s62, v21
	v_mov_b32_e32 v3, 0x7f800001
	s_and_saveexec_b64 s[46:47], vcc
	s_cbranch_execz .LBB4_899
; %bb.898:                              ;   in Loop: Header=BB4_639 Depth=2
	v_and_b32_e32 v3, 7, v4
	v_ffbh_u32_e32 v3, v3
	v_min_u32_e32 v3, 32, v3
	v_subrev_u32_e32 v23, 28, v3
	v_cmp_gt_u32_e32 vcc, 8, v21
	v_lshrrev_b32_e32 v22, 3, v21
	v_sub_u32_e32 v3, 29, v3
	v_cndmask_b32_e32 v21, 0, v23, vcc
	v_cndmask_b32_e32 v3, v22, v3, vcc
	v_lshlrev_b64 v[22:23], v21, v[4:5]
	v_lshlrev_b32_e32 v5, 20, v22
	v_lshlrev_b32_e32 v21, 24, v4
	v_and_b32_e32 v5, 0x700000, v5
	v_and_b32_e32 v21, 0x80000000, v21
	v_lshl_add_u32 v3, v3, 23, v47
	v_or3_b32 v3, v21, v3, v5
.LBB4_899:                              ;   in Loop: Header=BB4_639 Depth=2
	s_or_b64 exec, exec, s[46:47]
.LBB4_900:                              ;   in Loop: Header=BB4_639 Depth=2
	s_or_b64 exec, exec, s[44:45]
.LBB4_901:                              ;   in Loop: Header=BB4_639 Depth=2
	s_or_b64 exec, exec, s[16:17]
	v_lshlrev_b32_e32 v21, 8, v27
	v_lshlrev_b32_e32 v5, 24, v48
	v_perm_b32 v22, v33, v9, s69
	v_or3_b32 v42, v22, v5, v21
	v_cmp_ne_u16_sdwa vcc, v9, v43 src0_sel:BYTE_0 src1_sel:DWORD
	s_and_saveexec_b64 s[16:17], vcc
	s_cbranch_execz .LBB4_907
; %bb.902:                              ;   in Loop: Header=BB4_639 Depth=2
	v_cmp_ne_u16_sdwa vcc, v9, s61 src0_sel:BYTE_0 src1_sel:DWORD
	v_bfrev_b32_e32 v2, 1
	s_and_saveexec_b64 s[44:45], vcc
	s_cbranch_execz .LBB4_906
; %bb.903:                              ;   in Loop: Header=BB4_639 Depth=2
	v_and_b32_e32 v5, 0x7f, v9
	v_cmp_ne_u32_e32 vcc, s62, v5
	v_mov_b32_e32 v2, 0x7f800001
	s_and_saveexec_b64 s[46:47], vcc
	s_cbranch_execz .LBB4_905
; %bb.904:                              ;   in Loop: Header=BB4_639 Depth=2
	v_and_b32_e32 v2, 7, v9
	v_ffbh_u32_e32 v2, v2
	v_min_u32_e32 v2, 32, v2
	v_subrev_u32_e32 v22, 28, v2
	v_cmp_gt_u32_e32 vcc, 8, v5
	v_lshrrev_b32_e32 v9, 3, v5
	v_cndmask_b32_e32 v5, 0, v22, vcc
	v_sub_u32_e32 v2, 29, v2
	v_lshlrev_b64 v[22:23], v5, v[42:43]
	v_cndmask_b32_e32 v2, v9, v2, vcc
	v_lshlrev_b32_e32 v5, 20, v22
	v_lshlrev_b32_e32 v9, 24, v42
	v_and_b32_e32 v5, 0x700000, v5
	v_and_b32_e32 v9, 0x80000000, v9
	v_lshl_add_u32 v2, v2, 23, v47
	v_or3_b32 v2, v9, v2, v5
.LBB4_905:                              ;   in Loop: Header=BB4_639 Depth=2
	s_or_b64 exec, exec, s[46:47]
.LBB4_906:                              ;   in Loop: Header=BB4_639 Depth=2
	s_or_b64 exec, exec, s[44:45]
.LBB4_907:                              ;   in Loop: Header=BB4_639 Depth=2
	s_or_b64 exec, exec, s[16:17]
	v_add_f32_e32 v24, v3, v2
	v_and_b32_sdwa v9, v24, s61 dst_sel:DWORD dst_unused:UNUSED_PAD src0_sel:BYTE_3 src1_sel:DWORD
	v_and_b32_e32 v22, 0x7f800000, v24
	v_mov_b32_e32 v23, v43
	v_and_b32_e32 v2, 0x7fffff, v24
	v_mov_b32_e32 v3, v43
	v_or_b32_e32 v5, 0x7e, v9
	v_cmp_ne_u64_e32 vcc, s[36:37], v[22:23]
	s_and_saveexec_b64 s[16:17], vcc
	s_xor_b64 s[44:45], exec, s[16:17]
	s_cbranch_execz .LBB4_917
; %bb.908:                              ;   in Loop: Header=BB4_639 Depth=2
	v_and_b32_e32 v22, 0x7fffffff, v24
	v_mov_b32_e32 v23, v43
	v_cmp_gt_u64_e32 vcc, s[38:39], v[22:23]
	s_and_saveexec_b64 s[46:47], vcc
	s_cbranch_execz .LBB4_916
; %bb.909:                              ;   in Loop: Header=BB4_639 Depth=2
	v_cmp_ne_u32_e32 vcc, 0, v24
	v_mov_b32_e32 v5, 0
	s_and_saveexec_b64 s[48:49], vcc
	s_cbranch_execz .LBB4_915
; %bb.910:                              ;   in Loop: Header=BB4_639 Depth=2
	v_bfe_u32 v5, v24, 23, 8
	v_sub_u32_e32 v23, 0x79, v5
	v_cmp_gt_u32_e32 vcc, s63, v5
	v_cndmask_b32_e32 v23, 0, v23, vcc
	v_cmp_eq_u32_e32 vcc, 0, v5
	v_add_u32_e32 v22, 0xffffff81, v5
	v_cndmask_b32_e32 v27, v23, v6, vcc
	v_cndmask_b32_e32 v5, v22, v30, vcc
	v_add_u32_e32 v22, 20, v27
	v_or_b32_e32 v24, 0x800000, v2
	v_lshlrev_b64 v[22:23], v22, -1
	v_cndmask_b32_e32 v2, v24, v2, vcc
	v_not_b32_e32 v22, v22
	v_and_b32_e32 v22, v2, v22
	v_add_u32_e32 v24, 19, v27
	v_lshrrev_b64 v[2:3], v27, v[2:3]
	v_not_b32_e32 v23, v23
	v_lshlrev_b64 v[48:49], v24, 1
	v_lshrrev_b32_e32 v24, 23, v2
	v_and_b32_e32 v23, 0, v23
	v_add3_u32 v27, v27, v5, v24
	v_bfe_u32 v5, v2, 20, 1
	v_add_u32_e32 v5, -1, v5
	v_cmp_eq_u64_e32 vcc, v[22:23], v[48:49]
	v_cndmask_b32_e32 v5, 0, v5, vcc
	v_add_u32_e32 v5, v5, v2
	v_and_b32_e32 v5, 0xfffff, v5
	v_add_co_u32_e32 v2, vcc, v5, v2
	v_add_u32_e32 v24, 6, v27
	v_addc_co_u32_e32 v3, vcc, 0, v3, vcc
	v_cmp_ne_u32_e32 vcc, 0, v24
                                        ; implicit-def: $vgpr5
	s_and_saveexec_b64 s[16:17], vcc
	s_xor_b64 s[16:17], exec, s[16:17]
; %bb.911:                              ;   in Loop: Header=BB4_639 Depth=2
	v_cmp_lt_u64_e32 vcc, s[40:41], v[2:3]
	v_add_u32_e32 v5, 7, v27
	v_cndmask_b32_e64 v22, 0, 1, vcc
	v_cndmask_b32_e32 v5, v24, v5, vcc
	v_lshrrev_b64 v[2:3], v22, v[2:3]
; %bb.912:                              ;   in Loop: Header=BB4_639 Depth=2
	s_andn2_saveexec_b64 s[16:17], s[16:17]
; %bb.913:                              ;   in Loop: Header=BB4_639 Depth=2
	v_bfe_u32 v5, v2, 23, 1
; %bb.914:                              ;   in Loop: Header=BB4_639 Depth=2
	s_or_b64 exec, exec, s[16:17]
	v_lshrrev_b64 v[2:3], 20, v[2:3]
	v_cmp_gt_i32_e32 vcc, 16, v5
	v_cndmask_b32_e32 v3, 0, v3, vcc
	v_cndmask_b32_e32 v2, 7, v2, vcc
	v_cmp_eq_u64_e64 s[16:17], 0, v[2:3]
	v_min_i32_e32 v3, 15, v5
	v_cmp_eq_u32_e32 vcc, 0, v5
	v_lshlrev_b32_e32 v3, 3, v3
	v_and_or_b32 v2, v2, 7, v3
	s_and_b64 s[16:17], vcc, s[16:17]
	v_cndmask_b32_e64 v2, v2, 0, s[16:17]
	v_or_b32_e32 v5, v2, v9
.LBB4_915:                              ;   in Loop: Header=BB4_639 Depth=2
	s_or_b64 exec, exec, s[48:49]
.LBB4_916:                              ;   in Loop: Header=BB4_639 Depth=2
	s_or_b64 exec, exec, s[46:47]
                                        ; implicit-def: $vgpr24
                                        ; implicit-def: $vgpr2_vgpr3
.LBB4_917:                              ;   in Loop: Header=BB4_639 Depth=2
	s_andn2_saveexec_b64 s[16:17], s[44:45]
; %bb.918:                              ;   in Loop: Header=BB4_639 Depth=2
	v_or_b32_sdwa v9, v24, s62 dst_sel:DWORD dst_unused:UNUSED_PAD src0_sel:BYTE_3 src1_sel:DWORD
	v_cmp_eq_u64_e32 vcc, 0, v[2:3]
	v_cndmask_b32_e32 v5, v9, v5, vcc
; %bb.919:                              ;   in Loop: Header=BB4_639 Depth=2
	s_or_b64 exec, exec, s[16:17]
	v_lshrrev_b16_e32 v2, 8, v4
	v_cmp_ne_u16_e32 vcc, 0, v2
	v_mov_b32_e32 v3, 0
	v_mov_b32_e32 v9, 0
	s_and_saveexec_b64 s[16:17], vcc
	s_cbranch_execz .LBB4_925
; %bb.920:                              ;   in Loop: Header=BB4_639 Depth=2
	v_cmp_ne_u16_e32 vcc, s61, v2
	v_bfrev_b32_e32 v9, 1
	s_and_saveexec_b64 s[44:45], vcc
	s_cbranch_execz .LBB4_924
; %bb.921:                              ;   in Loop: Header=BB4_639 Depth=2
	v_and_b32_e32 v22, 0x7f, v2
	v_cmp_ne_u32_e32 vcc, s62, v22
	v_mov_b32_e32 v9, 0x7f800001
	s_and_saveexec_b64 s[46:47], vcc
	s_cbranch_execz .LBB4_923
; %bb.922:                              ;   in Loop: Header=BB4_639 Depth=2
	v_and_b32_e32 v9, 7, v2
	v_ffbh_u32_e32 v24, v9
	v_min_u32_e32 v24, 32, v24
	v_subrev_u32_e32 v27, 28, v24
	v_lshlrev_b64 v[48:49], v27, v[2:3]
	v_lshrrev_b32_e32 v23, 3, v22
	v_sub_u32_e32 v2, 29, v24
	v_and_b32_e32 v24, 7, v48
	v_cmp_gt_u32_e32 vcc, 8, v22
	v_cndmask_b32_e32 v2, v23, v2, vcc
	v_cndmask_b32_e32 v9, v9, v24, vcc
	v_lshlrev_b32_e32 v22, 16, v4
	v_lshlrev_b32_e32 v9, 20, v9
	v_and_b32_e32 v22, 0x80000000, v22
	v_lshl_add_u32 v2, v2, 23, v47
	v_or3_b32 v9, v22, v2, v9
.LBB4_923:                              ;   in Loop: Header=BB4_639 Depth=2
	s_or_b64 exec, exec, s[46:47]
.LBB4_924:                              ;   in Loop: Header=BB4_639 Depth=2
	s_or_b64 exec, exec, s[44:45]
.LBB4_925:                              ;   in Loop: Header=BB4_639 Depth=2
	s_or_b64 exec, exec, s[16:17]
	v_lshrrev_b16_e32 v2, 8, v21
	v_cmp_ne_u16_e32 vcc, 0, v2
	s_and_saveexec_b64 s[16:17], vcc
	s_cbranch_execz .LBB4_931
; %bb.926:                              ;   in Loop: Header=BB4_639 Depth=2
	v_cmp_ne_u16_e32 vcc, s61, v2
	v_bfrev_b32_e32 v3, 1
	s_and_saveexec_b64 s[44:45], vcc
	s_cbranch_execz .LBB4_930
; %bb.927:                              ;   in Loop: Header=BB4_639 Depth=2
	v_and_b32_e32 v22, 0x7f, v2
	v_cmp_ne_u32_e32 vcc, s62, v22
	v_mov_b32_e32 v3, 0x7f800001
	s_and_saveexec_b64 s[46:47], vcc
	s_cbranch_execz .LBB4_929
; %bb.928:                              ;   in Loop: Header=BB4_639 Depth=2
	v_and_b32_e32 v23, 7, v2
	v_ffbh_u32_e32 v3, v23
	v_min_u32_e32 v27, 32, v3
	v_subrev_u32_e32 v3, 28, v27
	v_lshlrev_b64 v[2:3], v3, v[2:3]
	v_lshrrev_b32_e32 v24, 3, v22
	v_sub_u32_e32 v3, 29, v27
	v_and_b32_e32 v2, 7, v2
	v_cmp_gt_u32_e32 vcc, 8, v22
	v_cndmask_b32_e32 v3, v24, v3, vcc
	v_cndmask_b32_e32 v2, v23, v2, vcc
	v_lshlrev_b32_e32 v21, 16, v21
	v_lshlrev_b32_e32 v2, 20, v2
	v_and_b32_e32 v21, 0x80000000, v21
	v_lshl_add_u32 v3, v3, 23, v47
	v_or3_b32 v3, v21, v3, v2
.LBB4_929:                              ;   in Loop: Header=BB4_639 Depth=2
	s_or_b64 exec, exec, s[46:47]
.LBB4_930:                              ;   in Loop: Header=BB4_639 Depth=2
	s_or_b64 exec, exec, s[44:45]
.LBB4_931:                              ;   in Loop: Header=BB4_639 Depth=2
	s_or_b64 exec, exec, s[16:17]
	v_add_f32_e32 v24, v9, v3
	v_and_b32_sdwa v21, v24, s61 dst_sel:DWORD dst_unused:UNUSED_PAD src0_sel:BYTE_3 src1_sel:DWORD
	v_and_b32_e32 v22, 0x7f800000, v24
	v_mov_b32_e32 v23, v43
	v_and_b32_e32 v2, 0x7fffff, v24
	v_mov_b32_e32 v3, v43
	v_or_b32_e32 v9, 0x7e, v21
	v_cmp_ne_u64_e32 vcc, s[36:37], v[22:23]
	s_and_saveexec_b64 s[16:17], vcc
	s_xor_b64 s[44:45], exec, s[16:17]
	s_cbranch_execz .LBB4_941
; %bb.932:                              ;   in Loop: Header=BB4_639 Depth=2
	v_and_b32_e32 v22, 0x7fffffff, v24
	v_mov_b32_e32 v23, v43
	v_cmp_gt_u64_e32 vcc, s[38:39], v[22:23]
	s_and_saveexec_b64 s[46:47], vcc
	s_cbranch_execz .LBB4_940
; %bb.933:                              ;   in Loop: Header=BB4_639 Depth=2
	v_cmp_ne_u32_e32 vcc, 0, v24
	v_mov_b32_e32 v9, 0
	s_and_saveexec_b64 s[48:49], vcc
	s_cbranch_execz .LBB4_939
; %bb.934:                              ;   in Loop: Header=BB4_639 Depth=2
	v_bfe_u32 v9, v24, 23, 8
	v_sub_u32_e32 v23, 0x79, v9
	v_cmp_gt_u32_e32 vcc, s63, v9
	v_cndmask_b32_e32 v23, 0, v23, vcc
	v_cmp_eq_u32_e32 vcc, 0, v9
	v_add_u32_e32 v22, 0xffffff81, v9
	v_cndmask_b32_e32 v27, v23, v6, vcc
	v_cndmask_b32_e32 v9, v22, v30, vcc
	v_add_u32_e32 v22, 20, v27
	v_or_b32_e32 v24, 0x800000, v2
	v_lshlrev_b64 v[22:23], v22, -1
	v_cndmask_b32_e32 v2, v24, v2, vcc
	v_not_b32_e32 v22, v22
	v_and_b32_e32 v22, v2, v22
	v_add_u32_e32 v24, 19, v27
	v_lshrrev_b64 v[2:3], v27, v[2:3]
	v_not_b32_e32 v23, v23
	v_lshlrev_b64 v[48:49], v24, 1
	v_lshrrev_b32_e32 v24, 23, v2
	v_and_b32_e32 v23, 0, v23
	v_add3_u32 v27, v27, v9, v24
	v_bfe_u32 v9, v2, 20, 1
	v_add_u32_e32 v9, -1, v9
	v_cmp_eq_u64_e32 vcc, v[22:23], v[48:49]
	v_cndmask_b32_e32 v9, 0, v9, vcc
	v_add_u32_e32 v9, v9, v2
	v_and_b32_e32 v9, 0xfffff, v9
	v_add_co_u32_e32 v2, vcc, v9, v2
	v_add_u32_e32 v24, 6, v27
	v_addc_co_u32_e32 v3, vcc, 0, v3, vcc
	v_cmp_ne_u32_e32 vcc, 0, v24
                                        ; implicit-def: $vgpr9
	s_and_saveexec_b64 s[16:17], vcc
	s_xor_b64 s[16:17], exec, s[16:17]
; %bb.935:                              ;   in Loop: Header=BB4_639 Depth=2
	v_cmp_lt_u64_e32 vcc, s[40:41], v[2:3]
	v_add_u32_e32 v9, 7, v27
	v_cndmask_b32_e64 v22, 0, 1, vcc
	v_cndmask_b32_e32 v9, v24, v9, vcc
	v_lshrrev_b64 v[2:3], v22, v[2:3]
; %bb.936:                              ;   in Loop: Header=BB4_639 Depth=2
	s_andn2_saveexec_b64 s[16:17], s[16:17]
; %bb.937:                              ;   in Loop: Header=BB4_639 Depth=2
	v_bfe_u32 v9, v2, 23, 1
; %bb.938:                              ;   in Loop: Header=BB4_639 Depth=2
	s_or_b64 exec, exec, s[16:17]
	v_lshrrev_b64 v[2:3], 20, v[2:3]
	v_cmp_gt_i32_e32 vcc, 16, v9
	v_cndmask_b32_e32 v3, 0, v3, vcc
	v_cndmask_b32_e32 v2, 7, v2, vcc
	v_cmp_eq_u64_e64 s[16:17], 0, v[2:3]
	v_min_i32_e32 v3, 15, v9
	v_cmp_eq_u32_e32 vcc, 0, v9
	v_lshlrev_b32_e32 v3, 3, v3
	v_and_or_b32 v2, v2, 7, v3
	s_and_b64 s[16:17], vcc, s[16:17]
	v_cndmask_b32_e64 v2, v2, 0, s[16:17]
	v_or_b32_e32 v9, v2, v21
.LBB4_939:                              ;   in Loop: Header=BB4_639 Depth=2
	s_or_b64 exec, exec, s[48:49]
.LBB4_940:                              ;   in Loop: Header=BB4_639 Depth=2
	s_or_b64 exec, exec, s[46:47]
                                        ; implicit-def: $vgpr24
                                        ; implicit-def: $vgpr2_vgpr3
.LBB4_941:                              ;   in Loop: Header=BB4_639 Depth=2
	s_andn2_saveexec_b64 s[16:17], s[44:45]
; %bb.942:                              ;   in Loop: Header=BB4_639 Depth=2
	v_or_b32_sdwa v21, v24, s62 dst_sel:DWORD dst_unused:UNUSED_PAD src0_sel:BYTE_3 src1_sel:DWORD
	v_cmp_eq_u64_e32 vcc, 0, v[2:3]
	v_cndmask_b32_e32 v9, v21, v9, vcc
; %bb.943:                              ;   in Loop: Header=BB4_639 Depth=2
	s_or_b64 exec, exec, s[16:17]
	v_lshrrev_b32_e32 v2, 16, v4
	v_cmp_ne_u16_sdwa vcc, v2, v43 src0_sel:BYTE_0 src1_sel:DWORD
	v_mov_b32_e32 v3, 0
	v_mov_b32_e32 v21, 0
	s_and_saveexec_b64 s[16:17], vcc
	s_cbranch_execz .LBB4_949
; %bb.944:                              ;   in Loop: Header=BB4_639 Depth=2
	v_cmp_ne_u16_sdwa vcc, v2, s61 src0_sel:BYTE_0 src1_sel:DWORD
	v_bfrev_b32_e32 v21, 1
	s_and_saveexec_b64 s[44:45], vcc
	s_cbranch_execz .LBB4_948
; %bb.945:                              ;   in Loop: Header=BB4_639 Depth=2
	v_bfe_u32 v22, v4, 16, 7
	v_cmp_ne_u32_e32 vcc, s62, v22
	v_mov_b32_e32 v21, 0x7f800001
	s_and_saveexec_b64 s[46:47], vcc
	s_cbranch_execz .LBB4_947
; %bb.946:                              ;   in Loop: Header=BB4_639 Depth=2
	v_and_b32_e32 v21, 7, v2
	v_ffbh_u32_e32 v24, v21
	v_min_u32_e32 v24, 32, v24
	v_subrev_u32_e32 v27, 28, v24
	v_lshlrev_b64 v[48:49], v27, v[2:3]
	v_lshrrev_b32_e32 v23, 3, v22
	v_sub_u32_e32 v24, 29, v24
	v_and_b32_e32 v27, 7, v48
	v_cmp_gt_u32_e32 vcc, 8, v22
	v_cndmask_b32_e32 v22, v23, v24, vcc
	v_cndmask_b32_e32 v21, v21, v27, vcc
	v_lshlrev_b32_e32 v2, 24, v2
	v_lshlrev_b32_e32 v21, 20, v21
	v_and_b32_e32 v2, 0x80000000, v2
	v_lshl_add_u32 v22, v22, 23, v47
	v_or3_b32 v21, v2, v22, v21
.LBB4_947:                              ;   in Loop: Header=BB4_639 Depth=2
	s_or_b64 exec, exec, s[46:47]
.LBB4_948:                              ;   in Loop: Header=BB4_639 Depth=2
	s_or_b64 exec, exec, s[44:45]
.LBB4_949:                              ;   in Loop: Header=BB4_639 Depth=2
	s_or_b64 exec, exec, s[16:17]
	v_lshrrev_b32_e32 v2, 16, v42
	v_cmp_ne_u16_sdwa vcc, v2, v43 src0_sel:BYTE_0 src1_sel:DWORD
	s_and_saveexec_b64 s[16:17], vcc
	s_cbranch_execz .LBB4_955
; %bb.950:                              ;   in Loop: Header=BB4_639 Depth=2
	v_cmp_ne_u16_sdwa vcc, v2, s61 src0_sel:BYTE_0 src1_sel:DWORD
	v_bfrev_b32_e32 v3, 1
	s_and_saveexec_b64 s[44:45], vcc
	s_cbranch_execz .LBB4_954
; %bb.951:                              ;   in Loop: Header=BB4_639 Depth=2
	v_bfe_u32 v22, v42, 16, 7
	v_cmp_ne_u32_e32 vcc, s62, v22
	v_mov_b32_e32 v3, 0x7f800001
	s_and_saveexec_b64 s[46:47], vcc
	s_cbranch_execz .LBB4_953
; %bb.952:                              ;   in Loop: Header=BB4_639 Depth=2
	v_and_b32_e32 v23, 7, v2
	v_ffbh_u32_e32 v3, v23
	v_min_u32_e32 v27, 32, v3
	v_subrev_u32_e32 v3, 28, v27
	v_lshlrev_b64 v[2:3], v3, v[2:3]
	v_lshrrev_b32_e32 v24, 3, v22
	v_sub_u32_e32 v3, 29, v27
	v_and_b32_e32 v2, 7, v2
	v_cmp_gt_u32_e32 vcc, 8, v22
	v_cndmask_b32_e32 v3, v24, v3, vcc
	v_cndmask_b32_e32 v2, v23, v2, vcc
	v_lshlrev_b32_e32 v22, 8, v42
	v_lshlrev_b32_e32 v2, 20, v2
	v_and_b32_e32 v22, 0x80000000, v22
	v_lshl_add_u32 v3, v3, 23, v47
	v_or3_b32 v3, v22, v3, v2
.LBB4_953:                              ;   in Loop: Header=BB4_639 Depth=2
	s_or_b64 exec, exec, s[46:47]
.LBB4_954:                              ;   in Loop: Header=BB4_639 Depth=2
	s_or_b64 exec, exec, s[44:45]
.LBB4_955:                              ;   in Loop: Header=BB4_639 Depth=2
	s_or_b64 exec, exec, s[16:17]
	v_add_f32_e32 v27, v21, v3
	v_and_b32_sdwa v24, v27, s61 dst_sel:DWORD dst_unused:UNUSED_PAD src0_sel:BYTE_3 src1_sel:DWORD
	v_and_b32_e32 v22, 0x7f800000, v27
	v_mov_b32_e32 v23, v43
	v_and_b32_e32 v2, 0x7fffff, v27
	v_mov_b32_e32 v3, v43
	v_or_b32_e32 v21, 0x7e, v24
	v_cmp_ne_u64_e32 vcc, s[36:37], v[22:23]
	s_and_saveexec_b64 s[16:17], vcc
	s_xor_b64 s[44:45], exec, s[16:17]
	s_cbranch_execz .LBB4_965
; %bb.956:                              ;   in Loop: Header=BB4_639 Depth=2
	v_and_b32_e32 v22, 0x7fffffff, v27
	v_mov_b32_e32 v23, v43
	v_cmp_gt_u64_e32 vcc, s[38:39], v[22:23]
	s_and_saveexec_b64 s[46:47], vcc
	s_cbranch_execz .LBB4_964
; %bb.957:                              ;   in Loop: Header=BB4_639 Depth=2
	v_cmp_ne_u32_e32 vcc, 0, v27
	v_mov_b32_e32 v21, 0
	s_and_saveexec_b64 s[48:49], vcc
	s_cbranch_execz .LBB4_963
; %bb.958:                              ;   in Loop: Header=BB4_639 Depth=2
	v_bfe_u32 v21, v27, 23, 8
	v_sub_u32_e32 v23, 0x79, v21
	v_cmp_gt_u32_e32 vcc, s63, v21
	v_cndmask_b32_e32 v23, 0, v23, vcc
	v_cmp_eq_u32_e32 vcc, 0, v21
	v_add_u32_e32 v22, 0xffffff81, v21
	v_cndmask_b32_e32 v31, v23, v6, vcc
	v_cndmask_b32_e32 v21, v22, v30, vcc
	v_add_u32_e32 v22, 20, v31
	v_or_b32_e32 v27, 0x800000, v2
	v_lshlrev_b64 v[22:23], v22, -1
	v_cndmask_b32_e32 v2, v27, v2, vcc
	v_not_b32_e32 v22, v22
	v_and_b32_e32 v22, v2, v22
	v_add_u32_e32 v27, 19, v31
	v_lshrrev_b64 v[2:3], v31, v[2:3]
	v_not_b32_e32 v23, v23
	v_lshlrev_b64 v[48:49], v27, 1
	v_lshrrev_b32_e32 v27, 23, v2
	v_and_b32_e32 v23, 0, v23
	v_add3_u32 v31, v31, v21, v27
	v_bfe_u32 v21, v2, 20, 1
	v_add_u32_e32 v21, -1, v21
	v_cmp_eq_u64_e32 vcc, v[22:23], v[48:49]
	v_cndmask_b32_e32 v21, 0, v21, vcc
	v_add_u32_e32 v21, v21, v2
	v_and_b32_e32 v21, 0xfffff, v21
	v_add_co_u32_e32 v2, vcc, v21, v2
	v_add_u32_e32 v27, 6, v31
	v_addc_co_u32_e32 v3, vcc, 0, v3, vcc
	v_cmp_ne_u32_e32 vcc, 0, v27
                                        ; implicit-def: $vgpr21
	s_and_saveexec_b64 s[16:17], vcc
	s_xor_b64 s[16:17], exec, s[16:17]
; %bb.959:                              ;   in Loop: Header=BB4_639 Depth=2
	v_cmp_lt_u64_e32 vcc, s[40:41], v[2:3]
	v_add_u32_e32 v21, 7, v31
	v_cndmask_b32_e64 v22, 0, 1, vcc
	v_cndmask_b32_e32 v21, v27, v21, vcc
	v_lshrrev_b64 v[2:3], v22, v[2:3]
; %bb.960:                              ;   in Loop: Header=BB4_639 Depth=2
	s_andn2_saveexec_b64 s[16:17], s[16:17]
; %bb.961:                              ;   in Loop: Header=BB4_639 Depth=2
	v_bfe_u32 v21, v2, 23, 1
; %bb.962:                              ;   in Loop: Header=BB4_639 Depth=2
	s_or_b64 exec, exec, s[16:17]
	v_lshrrev_b64 v[2:3], 20, v[2:3]
	v_cmp_gt_i32_e32 vcc, 16, v21
	v_cndmask_b32_e32 v3, 0, v3, vcc
	v_cndmask_b32_e32 v2, 7, v2, vcc
	v_cmp_eq_u64_e64 s[16:17], 0, v[2:3]
	v_min_i32_e32 v3, 15, v21
	v_lshlrev_b32_e32 v3, 3, v3
	v_cmp_eq_u32_e32 vcc, 0, v21
	v_and_b32_e32 v3, 0xf8, v3
	v_and_or_b32 v2, v2, 7, v3
	s_and_b64 s[16:17], vcc, s[16:17]
	v_cndmask_b32_e64 v2, v2, 0, s[16:17]
	v_or_b32_e32 v21, v2, v24
.LBB4_963:                              ;   in Loop: Header=BB4_639 Depth=2
	s_or_b64 exec, exec, s[48:49]
.LBB4_964:                              ;   in Loop: Header=BB4_639 Depth=2
	s_or_b64 exec, exec, s[46:47]
                                        ; implicit-def: $vgpr27
                                        ; implicit-def: $vgpr2_vgpr3
.LBB4_965:                              ;   in Loop: Header=BB4_639 Depth=2
	s_andn2_saveexec_b64 s[16:17], s[44:45]
; %bb.966:                              ;   in Loop: Header=BB4_639 Depth=2
	v_or_b32_sdwa v22, v27, s62 dst_sel:DWORD dst_unused:UNUSED_PAD src0_sel:BYTE_3 src1_sel:DWORD
	v_cmp_eq_u64_e32 vcc, 0, v[2:3]
	v_cndmask_b32_e32 v21, v22, v21, vcc
; %bb.967:                              ;   in Loop: Header=BB4_639 Depth=2
	s_or_b64 exec, exec, s[16:17]
	v_and_b32_e32 v2, 0xff000000, v4
	v_mov_b32_e32 v3, v43
	v_cmp_ne_u64_e32 vcc, 0, v[2:3]
	v_mov_b32_e32 v3, 0
	v_mov_b32_e32 v24, 0
	s_and_saveexec_b64 s[16:17], vcc
	s_cbranch_execz .LBB4_973
; %bb.968:                              ;   in Loop: Header=BB4_639 Depth=2
	v_lshrrev_b32_e32 v2, 24, v4
	v_cmp_ne_u32_e32 vcc, s61, v2
	v_bfrev_b32_e32 v24, 1
	s_and_saveexec_b64 s[44:45], vcc
	s_cbranch_execz .LBB4_972
; %bb.969:                              ;   in Loop: Header=BB4_639 Depth=2
	v_bfe_u32 v4, v4, 24, 7
	v_cmp_ne_u32_e32 vcc, s62, v4
	v_mov_b32_e32 v24, 0x7f800001
	s_and_saveexec_b64 s[46:47], vcc
	s_cbranch_execz .LBB4_971
; %bb.970:                              ;   in Loop: Header=BB4_639 Depth=2
	v_and_b32_e32 v24, 7, v2
	v_ffbh_u32_e32 v22, v24
	v_min_u32_e32 v31, 32, v22
	v_subrev_u32_e32 v22, 28, v31
	v_lshlrev_b64 v[22:23], v22, v[2:3]
	v_lshrrev_b32_e32 v27, 3, v4
	v_sub_u32_e32 v23, 29, v31
	v_and_b32_e32 v22, 7, v22
	v_cmp_gt_u32_e32 vcc, 8, v4
	v_cndmask_b32_e32 v4, v27, v23, vcc
	v_cndmask_b32_e32 v22, v24, v22, vcc
	v_lshlrev_b32_e32 v2, 24, v2
	v_lshlrev_b32_e32 v22, 20, v22
	v_and_b32_e32 v2, 0x80000000, v2
	v_lshl_add_u32 v4, v4, 23, v47
	v_or3_b32 v24, v2, v4, v22
.LBB4_971:                              ;   in Loop: Header=BB4_639 Depth=2
	s_or_b64 exec, exec, s[46:47]
.LBB4_972:                              ;   in Loop: Header=BB4_639 Depth=2
	s_or_b64 exec, exec, s[44:45]
.LBB4_973:                              ;   in Loop: Header=BB4_639 Depth=2
	s_or_b64 exec, exec, s[16:17]
	v_cmp_lt_u32_e32 vcc, s64, v42
	s_and_saveexec_b64 s[16:17], vcc
	s_cbranch_execz .LBB4_979
; %bb.974:                              ;   in Loop: Header=BB4_639 Depth=2
	v_lshrrev_b32_e32 v2, 24, v42
	v_cmp_ne_u32_sdwa vcc, v42, s61 src0_sel:BYTE_3 src1_sel:DWORD
	v_bfrev_b32_e32 v3, 1
	s_and_saveexec_b64 s[44:45], vcc
	s_cbranch_execz .LBB4_978
; %bb.975:                              ;   in Loop: Header=BB4_639 Depth=2
	v_bfe_u32 v4, v42, 24, 7
	v_cmp_ne_u32_e32 vcc, s62, v4
	v_mov_b32_e32 v3, 0x7f800001
	s_and_saveexec_b64 s[46:47], vcc
	s_cbranch_execz .LBB4_977
; %bb.976:                              ;   in Loop: Header=BB4_639 Depth=2
	v_and_b32_e32 v22, 7, v2
	v_ffbh_u32_e32 v3, v22
	v_min_u32_e32 v27, 32, v3
	v_subrev_u32_e32 v3, 28, v27
	v_lshlrev_b64 v[2:3], v3, v[2:3]
	v_lshrrev_b32_e32 v23, 3, v4
	v_sub_u32_e32 v3, 29, v27
	v_and_b32_e32 v2, 7, v2
	v_cmp_gt_u32_e32 vcc, 8, v4
	v_cndmask_b32_e32 v3, v23, v3, vcc
	v_cndmask_b32_e32 v2, v22, v2, vcc
	v_lshlrev_b32_sdwa v4, v7, v42 dst_sel:DWORD dst_unused:UNUSED_PAD src0_sel:DWORD src1_sel:BYTE_3
	v_lshlrev_b32_e32 v2, 20, v2
	v_and_b32_e32 v4, 0x80000000, v4
	v_lshl_add_u32 v3, v3, 23, v47
	v_or3_b32 v3, v4, v3, v2
.LBB4_977:                              ;   in Loop: Header=BB4_639 Depth=2
	s_or_b64 exec, exec, s[46:47]
.LBB4_978:                              ;   in Loop: Header=BB4_639 Depth=2
	s_or_b64 exec, exec, s[44:45]
.LBB4_979:                              ;   in Loop: Header=BB4_639 Depth=2
	s_or_b64 exec, exec, s[16:17]
	v_add_f32_e32 v3, v24, v3
	v_and_b32_sdwa v4, v3, s61 dst_sel:DWORD dst_unused:UNUSED_PAD src0_sel:BYTE_3 src1_sel:DWORD
	v_and_b32_e32 v22, 0x7f800000, v3
	v_mov_b32_e32 v23, v43
	v_and_b32_e32 v42, 0x7fffff, v3
	v_or_b32_e32 v2, 0x7e, v4
	v_cmp_ne_u64_e32 vcc, s[36:37], v[22:23]
	s_and_saveexec_b64 s[16:17], vcc
	s_xor_b64 s[44:45], exec, s[16:17]
	s_cbranch_execz .LBB4_989
; %bb.980:                              ;   in Loop: Header=BB4_639 Depth=2
	v_and_b32_e32 v22, 0x7fffffff, v3
	v_mov_b32_e32 v23, v43
	v_cmp_gt_u64_e32 vcc, s[38:39], v[22:23]
	s_and_saveexec_b64 s[46:47], vcc
	s_cbranch_execz .LBB4_988
; %bb.981:                              ;   in Loop: Header=BB4_639 Depth=2
	v_cmp_ne_u32_e32 vcc, 0, v3
	v_mov_b32_e32 v2, 0
	s_and_saveexec_b64 s[48:49], vcc
	s_cbranch_execz .LBB4_987
; %bb.982:                              ;   in Loop: Header=BB4_639 Depth=2
	v_bfe_u32 v2, v3, 23, 8
	v_sub_u32_e32 v22, 0x79, v2
	v_cmp_gt_u32_e32 vcc, s63, v2
	v_cndmask_b32_e32 v22, 0, v22, vcc
	v_cmp_eq_u32_e32 vcc, 0, v2
	v_or_b32_e32 v23, 0x800000, v42
	v_cndmask_b32_e32 v27, v22, v6, vcc
	v_add_u32_e32 v3, 0xffffff81, v2
	v_cndmask_b32_e32 v42, v23, v42, vcc
	v_add_u32_e32 v2, 20, v27
	v_cndmask_b32_e32 v24, v3, v30, vcc
	v_lshlrev_b64 v[2:3], v2, -1
	v_lshrrev_b64 v[48:49], v27, v[42:43]
	v_not_b32_e32 v3, v3
	v_not_b32_e32 v2, v2
	v_add_u32_e32 v22, 19, v27
	v_lshrrev_b32_e32 v31, 23, v48
	v_and_b32_e32 v3, 0, v3
	v_and_b32_e32 v2, v42, v2
	v_lshlrev_b64 v[22:23], v22, 1
	v_add3_u32 v31, v27, v24, v31
	v_bfe_u32 v24, v48, 20, 1
	v_add_u32_e32 v24, -1, v24
	v_cmp_eq_u64_e32 vcc, v[2:3], v[22:23]
	v_cndmask_b32_e32 v2, 0, v24, vcc
	v_add_u32_e32 v2, v2, v48
	v_and_b32_e32 v2, 0xfffff, v2
	v_add_co_u32_e32 v2, vcc, v2, v48
	v_add_u32_e32 v27, 6, v31
	v_addc_co_u32_e32 v3, vcc, 0, v49, vcc
	v_cmp_ne_u32_e32 vcc, 0, v27
                                        ; implicit-def: $vgpr24
	s_and_saveexec_b64 s[16:17], vcc
	s_xor_b64 s[16:17], exec, s[16:17]
; %bb.983:                              ;   in Loop: Header=BB4_639 Depth=2
	v_add_u32_e32 v22, 7, v31
	v_cmp_lt_u64_e32 vcc, s[40:41], v[2:3]
	v_cndmask_b32_e32 v24, v27, v22, vcc
	v_cndmask_b32_e64 v22, 0, 1, vcc
	v_lshrrev_b64 v[2:3], v22, v[2:3]
; %bb.984:                              ;   in Loop: Header=BB4_639 Depth=2
	s_andn2_saveexec_b64 s[16:17], s[16:17]
; %bb.985:                              ;   in Loop: Header=BB4_639 Depth=2
	v_bfe_u32 v24, v2, 23, 1
; %bb.986:                              ;   in Loop: Header=BB4_639 Depth=2
	s_or_b64 exec, exec, s[16:17]
	v_lshrrev_b64 v[2:3], 20, v[2:3]
	v_cmp_gt_i32_e32 vcc, 16, v24
	v_cndmask_b32_e32 v3, 0, v3, vcc
	v_cndmask_b32_e32 v2, 7, v2, vcc
	v_cmp_eq_u64_e64 s[16:17], 0, v[2:3]
	v_min_i32_e32 v3, 15, v24
	v_lshlrev_b32_e32 v3, 3, v3
	v_cmp_eq_u32_e32 vcc, 0, v24
	v_and_b32_e32 v3, 0xf8, v3
	v_and_or_b32 v2, v2, 7, v3
	s_and_b64 s[16:17], vcc, s[16:17]
	v_cndmask_b32_e64 v2, v2, 0, s[16:17]
	v_or_b32_e32 v2, v2, v4
.LBB4_987:                              ;   in Loop: Header=BB4_639 Depth=2
	s_or_b64 exec, exec, s[48:49]
.LBB4_988:                              ;   in Loop: Header=BB4_639 Depth=2
	s_or_b64 exec, exec, s[46:47]
                                        ; implicit-def: $vgpr3
.LBB4_989:                              ;   in Loop: Header=BB4_639 Depth=2
	s_andn2_saveexec_b64 s[16:17], s[44:45]
; %bb.990:                              ;   in Loop: Header=BB4_639 Depth=2
	v_or_b32_sdwa v3, v3, s62 dst_sel:DWORD dst_unused:UNUSED_PAD src0_sel:BYTE_3 src1_sel:DWORD
	v_cmp_eq_u64_e32 vcc, 0, v[42:43]
	v_cndmask_b32_e32 v2, v3, v2, vcc
; %bb.991:                              ;   in Loop: Header=BB4_639 Depth=2
	s_or_b64 exec, exec, s[16:17]
	v_lshlrev_b32_e32 v3, 8, v9
	v_lshlrev_b32_e32 v2, 24, v2
	;; [unrolled: 1-line block ×3, first 2 shown]
	v_perm_b32 v3, v3, v5, s65
	v_cmp_lt_u32_e32 vcc, 7, v32
	v_or3_b32 v3, v2, v3, v4
	v_cndmask_b32_e64 v2, 0, 1, vcc
	;;#ASMSTART
	;;#ASMEND
	v_cmp_ne_u32_e64 s[16:17], 0, v2
	s_cmp_lg_u64 s[16:17], exec
	s_mov_b64 s[16:17], -1
	s_cbranch_scc0 .LBB4_1001
; %bb.992:                              ;   in Loop: Header=BB4_639 Depth=2
	v_cmp_ne_u32_e64 s[16:17], 1, v32
	flat_store_byte v[0:1], v8
	s_and_saveexec_b64 s[44:45], s[16:17]
	s_cbranch_execnz .LBB4_1003
; %bb.993:                              ;   in Loop: Header=BB4_639 Depth=2
	s_or_b64 exec, exec, s[44:45]
	v_cmp_lt_u32_e64 s[16:17], 2, v32
	s_and_saveexec_b64 s[44:45], s[16:17]
	s_cbranch_execnz .LBB4_1004
.LBB4_994:                              ;   in Loop: Header=BB4_639 Depth=2
	s_or_b64 exec, exec, s[44:45]
	v_cmp_lt_u32_e64 s[16:17], 3, v32
	s_and_saveexec_b64 s[44:45], s[16:17]
	s_cbranch_execnz .LBB4_1005
.LBB4_995:                              ;   in Loop: Header=BB4_639 Depth=2
	s_or_b64 exec, exec, s[44:45]
	v_cmp_lt_u32_e64 s[16:17], 4, v32
	s_and_saveexec_b64 s[44:45], s[16:17]
	s_cbranch_execnz .LBB4_1006
.LBB4_996:                              ;   in Loop: Header=BB4_639 Depth=2
	s_or_b64 exec, exec, s[44:45]
	v_cmp_lt_u32_e64 s[16:17], 5, v32
	s_and_saveexec_b64 s[44:45], s[16:17]
	s_cbranch_execnz .LBB4_1007
.LBB4_997:                              ;   in Loop: Header=BB4_639 Depth=2
	s_or_b64 exec, exec, s[44:45]
	v_cmp_lt_u32_e64 s[16:17], 6, v32
	s_and_saveexec_b64 s[44:45], s[16:17]
	s_cbranch_execnz .LBB4_1008
.LBB4_998:                              ;   in Loop: Header=BB4_639 Depth=2
	s_or_b64 exec, exec, s[44:45]
	s_and_saveexec_b64 s[16:17], vcc
	s_cbranch_execz .LBB4_1000
.LBB4_999:                              ;   in Loop: Header=BB4_639 Depth=2
	v_lshrrev_b32_e32 v2, 24, v3
	flat_store_byte v[0:1], v2 offset:7
.LBB4_1000:                             ;   in Loop: Header=BB4_639 Depth=2
	s_or_b64 exec, exec, s[16:17]
	s_mov_b64 s[16:17], 0
.LBB4_1001:                             ;   in Loop: Header=BB4_639 Depth=2
	s_and_b64 vcc, exec, s[16:17]
	s_cbranch_vccz .LBB4_638
; %bb.1002:                             ;   in Loop: Header=BB4_639 Depth=2
	v_perm_b32 v4, v10, v11, s66
	v_lshlrev_b32_e32 v2, 8, v25
	v_perm_b32 v4, v4, v8, s69
	v_and_or_b32 v2, v2, s67, v4
	global_store_dwordx2 v[0:1], v[2:3], off
	s_branch .LBB4_638
.LBB4_1003:                             ;   in Loop: Header=BB4_639 Depth=2
	flat_store_byte v[0:1], v25 offset:1
	s_or_b64 exec, exec, s[44:45]
	v_cmp_lt_u32_e64 s[16:17], 2, v32
	s_and_saveexec_b64 s[44:45], s[16:17]
	s_cbranch_execz .LBB4_994
.LBB4_1004:                             ;   in Loop: Header=BB4_639 Depth=2
	flat_store_byte v[0:1], v11 offset:2
	s_or_b64 exec, exec, s[44:45]
	v_cmp_lt_u32_e64 s[16:17], 3, v32
	s_and_saveexec_b64 s[44:45], s[16:17]
	s_cbranch_execz .LBB4_995
.LBB4_1005:                             ;   in Loop: Header=BB4_639 Depth=2
	flat_store_byte v[0:1], v10 offset:3
	s_or_b64 exec, exec, s[44:45]
	v_cmp_lt_u32_e64 s[16:17], 4, v32
	s_and_saveexec_b64 s[44:45], s[16:17]
	s_cbranch_execz .LBB4_996
.LBB4_1006:                             ;   in Loop: Header=BB4_639 Depth=2
	flat_store_byte v[0:1], v5 offset:4
	s_or_b64 exec, exec, s[44:45]
	v_cmp_lt_u32_e64 s[16:17], 5, v32
	s_and_saveexec_b64 s[44:45], s[16:17]
	s_cbranch_execz .LBB4_997
.LBB4_1007:                             ;   in Loop: Header=BB4_639 Depth=2
	flat_store_byte v[0:1], v9 offset:5
	s_or_b64 exec, exec, s[44:45]
	v_cmp_lt_u32_e64 s[16:17], 6, v32
	s_and_saveexec_b64 s[44:45], s[16:17]
	s_cbranch_execz .LBB4_998
.LBB4_1008:                             ;   in Loop: Header=BB4_639 Depth=2
	flat_store_byte v[0:1], v21 offset:6
	s_or_b64 exec, exec, s[44:45]
	s_and_saveexec_b64 s[16:17], vcc
	s_cbranch_execnz .LBB4_999
	s_branch .LBB4_1000
.LBB4_1009:                             ;   in Loop: Header=BB4_27 Depth=1
	s_or_b64 exec, exec, s[42:43]
	v_accvgpr_read_b32 v2, a10
	v_accvgpr_read_b32 v8, a44
	v_accvgpr_read_b32 v3, a11
	v_accvgpr_read_b32 v38, a39
	v_accvgpr_read_b32 v9, a45
.LBB4_1010:                             ;   in Loop: Header=BB4_27 Depth=1
	s_or_b64 exec, exec, s[18:19]
	s_and_saveexec_b64 s[16:17], s[10:11]
	s_cbranch_execnz .LBB4_1012
; %bb.1011:                             ;   in Loop: Header=BB4_27 Depth=1
	s_or_b64 exec, exec, s[16:17]
	s_and_saveexec_b64 s[16:17], s[14:15]
	s_cbranch_execz .LBB4_26
	s_branch .LBB4_1030
.LBB4_1012:                             ;   in Loop: Header=BB4_27 Depth=1
	s_and_saveexec_b64 s[18:19], s[28:29]
	s_xor_b64 s[18:19], exec, s[18:19]
	s_cbranch_execz .LBB4_1027
; %bb.1013:                             ;   in Loop: Header=BB4_27 Depth=1
	s_and_saveexec_b64 s[42:43], s[12:13]
	s_cbranch_execz .LBB4_1026
; %bb.1014:                             ;   in Loop: Header=BB4_27 Depth=1
	s_mov_b64 s[46:47], exec
	v_mbcnt_lo_u32_b32 v0, s46, 0
	v_mbcnt_hi_u32_b32 v0, s47, v0
	v_cmp_eq_u32_e32 vcc, 0, v0
	s_waitcnt vmcnt(0) lgkmcnt(0)
	buffer_wbinvl1_vol
	s_and_saveexec_b64 s[44:45], vcc
	s_cbranch_execz .LBB4_1016
; %bb.1015:                             ;   in Loop: Header=BB4_27 Depth=1
	s_bcnt1_i32_b64 vcc_lo, s[46:47]
	v_mov_b32_e32 v42, vcc_lo
	ds_add_u64 v0, v[42:43]
	s_trap 2
.LBB4_1016:                             ;   in Loop: Header=BB4_27 Depth=1
	s_or_b64 exec, exec, s[44:45]
	s_trap 2
	ds_read_b64 v[0:1], v0
	v_accvgpr_read_b32 v4, a32
	v_add_co_u32_e32 v54, vcc, v54, v4
	v_accvgpr_read_b32 v5, a29
	v_addc_co_u32_e32 v55, vcc, v55, v5, vcc
	s_waitcnt lgkmcnt(0)
	v_cmp_lt_u64_e32 vcc, v[0:1], v[54:55]
	s_and_saveexec_b64 s[44:45], vcc
	s_cbranch_execz .LBB4_1025
; %bb.1017:                             ;   in Loop: Header=BB4_27 Depth=1
	s_mov_b32 s56, 0
	s_mov_b64 s[46:47], 0
                                        ; implicit-def: $sgpr48_sgpr49
                                        ; implicit-def: $sgpr50_sgpr51
	s_branch .LBB4_1019
.LBB4_1018:                             ;   in Loop: Header=BB4_1019 Depth=2
	s_or_b64 exec, exec, s[54:55]
	s_and_b64 vcc, exec, vcc
	s_or_b64 s[46:47], vcc, s[46:47]
	s_andn2_b64 vcc, s[48:49], exec
	s_and_b64 s[48:49], s[50:51], exec
	s_or_b64 s[48:49], vcc, s[48:49]
	s_andn2_b64 exec, exec, s[46:47]
	s_cbranch_execz .LBB4_1023
.LBB4_1019:                             ;   Parent Loop BB4_27 Depth=1
                                        ; =>  This Inner Loop Header: Depth=2
	s_add_i32 s56, s56, 1
	s_cmpk_lg_i32 s56, 0x2710
	s_cselect_b64 s[52:53], -1, 0
	s_and_b64 vcc, exec, s[52:53]
                                        ; implicit-def: $sgpr54_sgpr55
	s_cbranch_vccnz .LBB4_1021
; %bb.1020:                             ;   in Loop: Header=BB4_1019 Depth=2
	s_trap 2
	ds_read_b64 v[0:1], v0
	s_andn2_b64 s[52:53], s[52:53], exec
	s_mov_b32 s56, 0
	s_mov_b64 s[54:55], -1
	s_waitcnt lgkmcnt(0)
	flat_load_dword v0, v[0:1] glc
	s_waitcnt vmcnt(0) lgkmcnt(0)
	buffer_invl2
	buffer_wbinvl1_vol
	v_cmp_eq_u32_e32 vcc, 0, v0
	s_and_b64 vcc, vcc, exec
	s_or_b64 s[52:53], s[52:53], vcc
.LBB4_1021:                             ;   in Loop: Header=BB4_1019 Depth=2
	s_andn2_b64 s[50:51], s[50:51], exec
	s_and_b64 s[54:55], s[54:55], exec
	s_mov_b64 vcc, -1
	s_or_b64 s[50:51], s[50:51], s[54:55]
	s_and_saveexec_b64 s[54:55], s[52:53]
	s_cbranch_execz .LBB4_1018
; %bb.1022:                             ;   in Loop: Header=BB4_1019 Depth=2
	s_sleep 1
	s_trap 2
	ds_read_b64 v[0:1], v0
	s_andn2_b64 s[50:51], s[50:51], exec
	s_waitcnt lgkmcnt(0)
	v_cmp_ge_u64_e32 vcc, v[0:1], v[54:55]
	s_orn2_b64 vcc, vcc, exec
	s_branch .LBB4_1018
.LBB4_1023:                             ;   in Loop: Header=BB4_27 Depth=1
	s_or_b64 exec, exec, s[46:47]
	s_and_saveexec_b64 vcc, s[48:49]
	s_xor_b64 vcc, exec, vcc
	s_cbranch_execz .LBB4_1025
; %bb.1024:                             ;   in Loop: Header=BB4_27 Depth=1
	v_mov_b32_e32 v0, 1
	ds_write_b32 v0, v0
	s_trap 2
.LBB4_1025:                             ;   in Loop: Header=BB4_27 Depth=1
	s_or_b64 exec, exec, s[44:45]
	;;#ASMSTART
	s_wakeup
	;;#ASMEND
.LBB4_1026:                             ;   in Loop: Header=BB4_27 Depth=1
	s_or_b64 exec, exec, s[42:43]
.LBB4_1027:                             ;   in Loop: Header=BB4_27 Depth=1
	s_andn2_saveexec_b64 s[18:19], s[18:19]
	s_cbranch_execz .LBB4_1029
; %bb.1028:                             ;   in Loop: Header=BB4_27 Depth=1
	s_waitcnt vmcnt(0) lgkmcnt(0)
	buffer_wbinvl1_vol
	s_barrier
.LBB4_1029:                             ;   in Loop: Header=BB4_27 Depth=1
	s_or_b64 exec, exec, s[18:19]
	s_or_b64 exec, exec, s[16:17]
	s_and_saveexec_b64 s[16:17], s[14:15]
	s_cbranch_execz .LBB4_26
.LBB4_1030:                             ;   in Loop: Header=BB4_27 Depth=1
	v_accvgpr_read_b32 v0, a22
	v_accvgpr_read_b32 v1, a23
	v_add_co_u32_e32 v0, vcc, 1, v0
	v_accvgpr_read_b32 v2, a24
	v_addc_co_u32_e32 v1, vcc, 0, v1, vcc
	v_accvgpr_read_b32 v3, a25
	v_accvgpr_write_b32 a23, v1
	flat_store_dwordx2 v[2:3], v[0:1]
	v_accvgpr_read_b32 v2, a10
	v_accvgpr_write_b32 a22, v0
	v_accvgpr_read_b32 v3, a11
	s_branch .LBB4_26
.LBB4_1031:
	s_or_b64 exec, exec, s[26:27]
	v_accvgpr_read_b32 v27, a15
	v_accvgpr_read_b32 v29, a17
	;; [unrolled: 1-line block ×6, first 2 shown]
.LBB4_1032:
	s_or_b64 exec, exec, s[24:25]
; %bb.1033:
	s_and_saveexec_b64 s[6:7], s[22:23]
	s_cbranch_execnz .LBB4_1036
; %bb.1034:
	s_or_b64 exec, exec, s[6:7]
	s_and_saveexec_b64 s[6:7], s[4:5]
	s_cbranch_execnz .LBB4_1037
.LBB4_1035:
	s_or_b64 exec, exec, s[6:7]
	v_cmp_ne_u32_e32 vcc, 64, v20
	s_and_saveexec_b64 s[4:5], vcc
	s_cbranch_execnz .LBB4_1038
	s_branch .LBB4_1055
.LBB4_1036:
	s_waitcnt vmcnt(0) lgkmcnt(0)
	flat_store_dwordx2 v[28:29], a[22:23] offset:104
	s_or_b64 exec, exec, s[6:7]
	s_and_saveexec_b64 s[6:7], s[4:5]
	s_cbranch_execz .LBB4_1035
.LBB4_1037:
	s_waitcnt vmcnt(0) lgkmcnt(0)
	flat_store_dwordx2 v[26:27], v[14:15] offset:104
	s_or_b64 exec, exec, s[6:7]
	v_cmp_ne_u32_e32 vcc, 64, v20
	s_and_saveexec_b64 s[4:5], vcc
	s_cbranch_execz .LBB4_1055
.LBB4_1038:
	s_waitcnt vmcnt(0)
	v_cmp_ne_u32_sdwa s[6:7], v9, v20 src0_sel:WORD_0 src1_sel:DWORD
	s_and_saveexec_b64 s[8:9], s[6:7]
	s_xor_b64 s[6:7], exec, s[8:9]
	s_cbranch_execz .LBB4_1053
; %bb.1039:
	v_and_b32_e32 v0, 63, v31
	v_cmp_eq_u32_e32 vcc, 0, v0
	s_and_saveexec_b64 s[8:9], vcc
	s_cbranch_execz .LBB4_1052
; %bb.1040:
	s_mov_b64 s[12:13], exec
	v_mbcnt_lo_u32_b32 v0, s12, 0
	v_mbcnt_hi_u32_b32 v0, s13, v0
	v_cmp_eq_u32_e32 vcc, 0, v0
	s_waitcnt lgkmcnt(0)
	buffer_wbinvl1_vol
	s_and_saveexec_b64 s[10:11], vcc
	s_cbranch_execz .LBB4_1042
; %bb.1041:
	s_bcnt1_i32_b64 s12, s[12:13]
	v_mov_b32_e32 v0, s12
	v_mov_b32_e32 v1, 0
	ds_add_u64 v0, v[0:1]
	s_trap 2
.LBB4_1042:
	s_or_b64 exec, exec, s[10:11]
	v_ashrrev_i32_e32 v0, 31, v20
	v_lshrrev_b32_e32 v0, 26, v0
	v_add_u32_e32 v0, v20, v0
	v_ashrrev_i32_e32 v0, 6, v0
	s_trap 2
	ds_read_b64 v[2:3], v0
	v_ashrrev_i32_e32 v1, 31, v0
	v_add_co_u32_e32 v0, vcc, v54, v0
	v_addc_co_u32_e32 v1, vcc, v55, v1, vcc
	s_waitcnt lgkmcnt(0)
	v_cmp_lt_u64_e32 vcc, v[2:3], v[0:1]
	s_and_saveexec_b64 s[10:11], vcc
	s_cbranch_execz .LBB4_1051
; %bb.1043:
	s_mov_b32 s24, 0
	s_mov_b64 s[12:13], 0
                                        ; implicit-def: $sgpr14_sgpr15
                                        ; implicit-def: $sgpr16_sgpr17
	s_branch .LBB4_1045
.LBB4_1044:                             ;   in Loop: Header=BB4_1045 Depth=1
	s_or_b64 exec, exec, s[22:23]
	s_and_b64 s[18:19], exec, s[20:21]
	s_or_b64 s[12:13], s[18:19], s[12:13]
	s_andn2_b64 s[14:15], s[14:15], exec
	s_and_b64 s[18:19], s[16:17], exec
	s_or_b64 s[14:15], s[14:15], s[18:19]
	s_andn2_b64 exec, exec, s[12:13]
	s_cbranch_execz .LBB4_1049
.LBB4_1045:                             ; =>This Inner Loop Header: Depth=1
	s_add_i32 s24, s24, 1
	s_cmpk_lg_i32 s24, 0x2710
	s_cselect_b64 s[18:19], -1, 0
	s_and_b64 vcc, exec, s[18:19]
                                        ; implicit-def: $sgpr22_sgpr23
	s_cbranch_vccnz .LBB4_1047
; %bb.1046:                             ;   in Loop: Header=BB4_1045 Depth=1
	s_trap 2
	ds_read_b64 v[2:3], v0
	s_andn2_b64 s[18:19], s[18:19], exec
	s_mov_b32 s24, 0
	s_mov_b64 s[22:23], -1
	s_waitcnt lgkmcnt(0)
	flat_load_dword v2, v[2:3] glc
	s_waitcnt vmcnt(0) lgkmcnt(0)
	buffer_invl2
	buffer_wbinvl1_vol
	v_cmp_eq_u32_e32 vcc, 0, v2
	s_and_b64 s[20:21], vcc, exec
	s_or_b64 s[18:19], s[18:19], s[20:21]
.LBB4_1047:                             ;   in Loop: Header=BB4_1045 Depth=1
	s_andn2_b64 s[16:17], s[16:17], exec
	s_and_b64 s[22:23], s[22:23], exec
	s_mov_b64 s[20:21], -1
	s_or_b64 s[16:17], s[16:17], s[22:23]
	s_and_saveexec_b64 s[22:23], s[18:19]
	s_cbranch_execz .LBB4_1044
; %bb.1048:                             ;   in Loop: Header=BB4_1045 Depth=1
	s_sleep 1
	s_trap 2
	ds_read_b64 v[2:3], v0
	s_andn2_b64 s[16:17], s[16:17], exec
	s_waitcnt lgkmcnt(0)
	v_cmp_ge_u64_e32 vcc, v[2:3], v[0:1]
	s_orn2_b64 s[20:21], vcc, exec
	s_branch .LBB4_1044
.LBB4_1049:
	s_or_b64 exec, exec, s[12:13]
	s_and_saveexec_b64 s[12:13], s[14:15]
	s_xor_b64 s[12:13], exec, s[12:13]
	s_cbranch_execz .LBB4_1051
; %bb.1050:
	v_mov_b32_e32 v0, 1
	ds_write_b32 v0, v0
	s_trap 2
.LBB4_1051:
	s_or_b64 exec, exec, s[10:11]
	;;#ASMSTART
	s_wakeup
	;;#ASMEND
.LBB4_1052:
	s_or_b64 exec, exec, s[8:9]
.LBB4_1053:
	s_andn2_saveexec_b64 s[6:7], s[6:7]
	s_cbranch_execz .LBB4_1055
; %bb.1054:
	s_waitcnt lgkmcnt(0)
	buffer_wbinvl1_vol
	s_barrier
.LBB4_1055:
	s_or_b64 exec, exec, s[4:5]
	buffer_load_dword a51, off, s[0:3], s32 ; 4-byte Folded Reload
	buffer_load_dword a50, off, s[0:3], s32 offset:4 ; 4-byte Folded Reload
	buffer_load_dword a48, off, s[0:3], s32 offset:8 ; 4-byte Folded Reload
	;; [unrolled: 1-line block ×33, first 2 shown]
	v_readlane_b32 s30, v63, 38
	v_readlane_b32 s31, v63, 39
	;; [unrolled: 1-line block ×40, first 2 shown]
	s_or_saveexec_b64 s[4:5], -1
	buffer_load_dword v63, off, s[0:3], s32 offset:136 ; 4-byte Folded Reload
	s_mov_b64 exec, s[4:5]
	s_waitcnt vmcnt(0) lgkmcnt(0)
	s_setpc_b64 s[30:31]
.Lfunc_end4:
	.size	_ZN12_GLOBAL__N_17runRingI14__hip_fp8_e4m313FuncPreMulSumIS1_E7ProtoLLLi0ELi4ELi0EEEviiP15ncclDevWorkColl, .Lfunc_end4-_ZN12_GLOBAL__N_17runRingI14__hip_fp8_e4m313FuncPreMulSumIS1_E7ProtoLLLi0ELi4ELi0EEEviiP15ncclDevWorkColl
                                        ; -- End function
	.section	.AMDGPU.csdata,"",@progbits
; Function info:
; codeLenInByte = 35420
; NumSgprs: 76
; NumVgprs: 64
; NumAgprs: 52
; TotalNumVgprs: 116
; ScratchSize: 144
; MemoryBound: 0
	.text
	.p2align	2                               ; -- Begin function _Z56ncclDevFunc_ReduceScatter_RING_LL_PreMulSum_f8e4m3_0_0_4v
	.type	_Z56ncclDevFunc_ReduceScatter_RING_LL_PreMulSum_f8e4m3_0_0_4v,@function
_Z56ncclDevFunc_ReduceScatter_RING_LL_PreMulSum_f8e4m3_0_0_4v: ; @_Z56ncclDevFunc_ReduceScatter_RING_LL_PreMulSum_f8e4m3_0_0_4v
; %bb.0:
	s_waitcnt vmcnt(0) expcnt(0) lgkmcnt(0)
	s_mov_b32 s4, s33
	s_mov_b32 s33, s32
	s_or_saveexec_b64 s[6:7], -1
	buffer_store_dword v43, off, s[0:3], s33 offset:16 ; 4-byte Folded Spill
	s_mov_b64 exec, s[6:7]
	v_writelane_b32 v43, s4, 48
	s_addk_i32 s32, 0x800
	buffer_store_dword v40, off, s[0:3], s33 offset:12 ; 4-byte Folded Spill
	buffer_store_dword v41, off, s[0:3], s33 offset:8 ; 4-byte Folded Spill
	;; [unrolled: 1-line block ×3, first 2 shown]
	buffer_store_dword v63, off, s[0:3], s33 ; 4-byte Folded Spill
	v_writelane_b32 v43, s34, 0
	v_writelane_b32 v43, s35, 1
	;; [unrolled: 1-line block ×48, first 2 shown]
	s_trap 2
	ds_read_b32 v0, v0
	v_mov_b32_e32 v40, v31
	v_and_b32_e32 v41, 0x3ff, v40
	s_mov_b32 s74, s12
	s_mov_b64 s[72:73], s[8:9]
	s_waitcnt lgkmcnt(0)
	v_cmp_lt_i32_e32 vcc, v41, v0
	s_and_saveexec_b64 s[4:5], vcc
	s_cbranch_execz .LBB5_5
; %bb.1:
	s_load_dword s6, s[72:73], 0x0
	v_mov_b32_e32 v1, 0
	s_mov_b32 s10, 0
	v_mov_b32_e32 v4, v41
                                        ; implicit-def: $vgpr2
	s_waitcnt lgkmcnt(0)
	s_cmp_lt_u32 s74, s6
	s_cselect_b32 s6, 12, 18
	s_add_u32 s6, s72, s6
	s_addc_u32 s7, s73, 0
	global_load_ushort v1, v1, s[6:7]
	s_trap 2
	ds_read_b32 v3, v0
	s_mov_b64 s[6:7], 0
	s_waitcnt vmcnt(0) lgkmcnt(0)
	v_mul_lo_u32 v3, v3, v1
	s_branch .LBB5_3
.LBB5_2:                                ;   in Loop: Header=BB5_3 Depth=1
	s_or_b64 exec, exec, s[8:9]
	v_add_u32_e32 v4, v4, v1
	v_cmp_ge_i32_e32 vcc, v4, v0
	s_or_b64 s[6:7], vcc, s[6:7]
	v_add_u32_e32 v2, v2, v3
	s_andn2_b64 exec, exec, s[6:7]
	s_cbranch_execz .LBB5_5
.LBB5_3:                                ; =>This Inner Loop Header: Depth=1
	ds_read_b32 v5, v2
	s_waitcnt lgkmcnt(0)
	v_and_b32_e32 v5, 0x1000000, v5
	v_cmp_ne_u32_e32 vcc, 0, v5
	s_and_saveexec_b64 s[8:9], vcc
	s_cbranch_execz .LBB5_2
; %bb.4:                                ;   in Loop: Header=BB5_3 Depth=1
	ds_read_b64 v[6:7], v2 offset:104
	s_waitcnt lgkmcnt(0)
	flat_load_ubyte v5, v[6:7]
	v_mov_b32_e32 v7, s10
	s_waitcnt vmcnt(0) lgkmcnt(0)
	v_and_b32_e32 v6, 0xffff, v5
	ds_write_b64 v2, v[6:7] offset:104
	s_branch .LBB5_2
.LBB5_5:
	s_or_b64 exec, exec, s[4:5]
	s_waitcnt lgkmcnt(0)
	s_barrier
	s_trap 2
	ds_read_b32 v0, v0
	s_waitcnt lgkmcnt(0)
	v_cmp_gt_i32_e32 vcc, 1, v0
	s_cbranch_vccnz .LBB5_13
; %bb.6:
	s_mov_b32 s75, 0
	s_mov_b64 s[76:77], src_shared_base
	v_mov_b32_e32 v42, 6
	s_branch .LBB5_8
.LBB5_7:                                ;   in Loop: Header=BB5_8 Depth=1
	s_or_b64 exec, exec, s[78:79]
	s_trap 2
	ds_read_b32 v0, v0
	s_add_i32 s75, s75, 1
	s_waitcnt lgkmcnt(0)
	v_cmp_lt_i32_e32 vcc, s75, v0
	s_cbranch_vccz .LBB5_13
.LBB5_8:                                ; =>This Inner Loop Header: Depth=1
	s_trap 2
	ds_read_b32 v0, v0
	s_cmp_eq_u32 s75, 0
	s_cbranch_scc1 .LBB5_11
; %bb.9:                                ;   in Loop: Header=BB5_8 Depth=1
	s_trap 2
	s_waitcnt lgkmcnt(0)
	ds_read_b32 v1, v0
	s_waitcnt lgkmcnt(0)
	v_xor_b32_e32 v1, v1, v0
	v_and_b32_e32 v1, 0xff0000, v1
	v_cmp_eq_u32_e32 vcc, 0, v1
	s_cbranch_vccnz .LBB5_11
; %bb.10:                               ;   in Loop: Header=BB5_8 Depth=1
	s_barrier
	ds_read_b32 v0, v0
.LBB5_11:                               ;   in Loop: Header=BB5_8 Depth=1
	s_waitcnt lgkmcnt(0)
	v_lshlrev_b32_sdwa v1, v42, v0 dst_sel:DWORD dst_unused:UNUSED_PAD src0_sel:DWORD src1_sel:BYTE_2
	v_cmp_lt_u32_e32 vcc, v41, v1
	s_and_saveexec_b64 s[78:79], vcc
	s_cbranch_execz .LBB5_7
; %bb.12:                               ;   in Loop: Header=BB5_8 Depth=1
	s_mov_b64 s[8:9], s[72:73]
	s_mov_b32 s12, s74
	v_mov_b32_e32 v31, v40
	v_mov_b32_e32 v0, v41
	;; [unrolled: 1-line block ×3, first 2 shown]
	s_getpc_b64 s[4:5]
	s_add_u32 s4, s4, _ZN12_GLOBAL__N_17runRingI14__hip_fp8_e4m313FuncPreMulSumIS1_E7ProtoLLLi0ELi4ELi0EEEviiP15ncclDevWorkColl@rel32@lo+4
	s_addc_u32 s5, s5, _ZN12_GLOBAL__N_17runRingI14__hip_fp8_e4m313FuncPreMulSumIS1_E7ProtoLLLi0ELi4ELi0EEEviiP15ncclDevWorkColl@rel32@hi+12
	s_swappc_b64 s[30:31], s[4:5]
	s_branch .LBB5_7
.LBB5_13:
	buffer_load_dword v63, off, s[0:3], s33 ; 4-byte Folded Reload
	buffer_load_dword v42, off, s[0:3], s33 offset:4 ; 4-byte Folded Reload
	buffer_load_dword v41, off, s[0:3], s33 offset:8 ; 4-byte Folded Reload
	;; [unrolled: 1-line block ×3, first 2 shown]
	v_readlane_b32 s30, v43, 46
	v_readlane_b32 s31, v43, 47
	;; [unrolled: 1-line block ×49, first 2 shown]
	s_or_saveexec_b64 s[6:7], -1
	buffer_load_dword v43, off, s[0:3], s33 offset:16 ; 4-byte Folded Reload
	s_mov_b64 exec, s[6:7]
	s_addk_i32 s32, 0xf800
	s_mov_b32 s33, s4
	s_waitcnt vmcnt(0)
	s_setpc_b64 s[30:31]
.Lfunc_end5:
	.size	_Z56ncclDevFunc_ReduceScatter_RING_LL_PreMulSum_f8e4m3_0_0_4v, .Lfunc_end5-_Z56ncclDevFunc_ReduceScatter_RING_LL_PreMulSum_f8e4m3_0_0_4v
                                        ; -- End function
	.section	.AMDGPU.csdata,"",@progbits
; Function info:
; codeLenInByte = 1376
; NumSgprs: 84
; NumVgprs: 64
; NumAgprs: 52
; TotalNumVgprs: 116
; ScratchSize: 176
; MemoryBound: 0
	.text
	.p2alignl 6, 3212836864
	.fill 256, 4, 3212836864
	.type	__hip_cuid_49f5a5b3645ef9a1,@object ; @__hip_cuid_49f5a5b3645ef9a1
	.section	.bss,"aw",@nobits
	.globl	__hip_cuid_49f5a5b3645ef9a1
__hip_cuid_49f5a5b3645ef9a1:
	.byte	0                               ; 0x0
	.size	__hip_cuid_49f5a5b3645ef9a1, 1

	.ident	"AMD clang version 19.0.0git (https://github.com/RadeonOpenCompute/llvm-project roc-6.4.0 25133 c7fe45cf4b819c5991fe208aaa96edf142730f1d)"
	.section	".note.GNU-stack","",@progbits
	.addrsig
	.addrsig_sym _Z56ncclDevFunc_ReduceScatter_RING_LL_PreMulSum_f8e4m3_0_0_1v
	.addrsig_sym _Z56ncclDevFunc_ReduceScatter_RING_LL_PreMulSum_f8e4m3_0_0_2v
	.addrsig_sym _Z56ncclDevFunc_ReduceScatter_RING_LL_PreMulSum_f8e4m3_0_0_4v
	.addrsig_sym ncclShmem
	.addrsig_sym __hip_cuid_49f5a5b3645ef9a1
	.amdgpu_metadata
---
amdhsa.kernels:  []
amdhsa.target:   amdgcn-amd-amdhsa--gfx90a
amdhsa.version:
  - 1
  - 2
...

	.end_amdgpu_metadata
